;; amdgpu-corpus repo=ROCm/rocFFT kind=compiled arch=gfx906 opt=O3
	.text
	.amdgcn_target "amdgcn-amd-amdhsa--gfx906"
	.amdhsa_code_object_version 6
	.protected	bluestein_single_back_len1375_dim1_dp_op_CI_CI ; -- Begin function bluestein_single_back_len1375_dim1_dp_op_CI_CI
	.globl	bluestein_single_back_len1375_dim1_dp_op_CI_CI
	.p2align	8
	.type	bluestein_single_back_len1375_dim1_dp_op_CI_CI,@function
bluestein_single_back_len1375_dim1_dp_op_CI_CI: ; @bluestein_single_back_len1375_dim1_dp_op_CI_CI
; %bb.0:
	s_load_dwordx4 s[8:11], s[4:5], 0x28
	s_mov_b64 s[42:43], s[2:3]
	v_mul_u32_u24_e32 v1, 0x4a8, v0
	s_mov_b64 s[40:41], s[0:1]
	v_add_u32_sdwa v250, s6, v1 dst_sel:DWORD dst_unused:UNUSED_PAD src0_sel:DWORD src1_sel:WORD_1
	v_mov_b32_e32 v251, 0
	s_add_u32 s40, s40, s7
	s_waitcnt lgkmcnt(0)
	v_cmp_gt_u64_e32 vcc, s[8:9], v[250:251]
	s_addc_u32 s41, s41, 0
	s_and_saveexec_b64 s[0:1], vcc
	s_cbranch_execz .LBB0_15
; %bb.1:
	s_load_dwordx4 s[0:3], s[4:5], 0x18
	s_load_dwordx2 s[6:7], s[4:5], 0x0
	v_mov_b32_e32 v2, 55
	v_mul_lo_u16_sdwa v1, v1, v2 dst_sel:DWORD dst_unused:UNUSED_PAD src0_sel:WORD_1 src1_sel:DWORD
	v_sub_u16_e32 v254, v0, v1
	s_waitcnt lgkmcnt(0)
	s_load_dwordx4 s[12:15], s[0:1], 0x0
	v_lshlrev_b32_e32 v223, 4, v254
	global_load_dwordx4 v[54:57], v223, s[6:7]
	s_movk_i32 s8, 0x5000
	s_waitcnt lgkmcnt(0)
	v_mad_u64_u32 v[0:1], s[0:1], s14, v250, 0
	v_mad_u64_u32 v[2:3], s[0:1], s12, v254, 0
	;; [unrolled: 1-line block ×4, first 2 shown]
	v_mov_b32_e32 v1, v4
	v_lshlrev_b64 v[0:1], 4, v[0:1]
	v_mov_b32_e32 v6, s11
	v_mov_b32_e32 v3, v5
	v_add_co_u32_e32 v26, vcc, s10, v0
	v_addc_co_u32_e32 v27, vcc, v6, v1, vcc
	v_lshlrev_b64 v[0:1], 4, v[2:3]
	s_mul_i32 s0, s13, 0x7d
	v_add_co_u32_e32 v0, vcc, v26, v0
	v_addc_co_u32_e32 v1, vcc, v27, v1, vcc
	s_mul_hi_u32 s1, s12, 0x7d
	v_mov_b32_e32 v2, s7
	v_add_co_u32_e32 v192, vcc, s6, v223
	s_add_i32 s1, s1, s0
	s_mul_i32 s0, s12, 0x7d
	v_addc_co_u32_e32 v193, vcc, 0, v2, vcc
	s_lshl_b64 s[16:17], s[0:1], 4
	v_mov_b32_e32 v25, s17
	v_add_co_u32_e32 v2, vcc, s16, v0
	v_addc_co_u32_e32 v3, vcc, v1, v25, vcc
	global_load_dwordx4 v[20:23], v[0:1], off
	global_load_dwordx4 v[28:31], v[2:3], off
	global_load_dwordx4 v[50:53], v223, s[6:7] offset:2000
	v_add_co_u32_e32 v8, vcc, s16, v2
	v_addc_co_u32_e32 v9, vcc, v3, v25, vcc
	v_add_co_u32_e32 v10, vcc, s16, v8
	v_addc_co_u32_e32 v11, vcc, v9, v25, vcc
	s_movk_i32 s0, 0x1000
	v_add_co_u32_e32 v16, vcc, s0, v192
	v_addc_co_u32_e32 v17, vcc, 0, v193, vcc
	v_add_co_u32_e32 v12, vcc, s16, v10
	v_addc_co_u32_e32 v13, vcc, v11, v25, vcc
	;; [unrolled: 2-line block ×3, first 2 shown]
	s_movk_i32 s0, 0x2000
	v_add_co_u32_e32 v18, vcc, s0, v192
	v_addc_co_u32_e32 v19, vcc, 0, v193, vcc
	v_add_co_u32_e32 v35, vcc, s16, v32
	v_addc_co_u32_e32 v36, vcc, v33, v25, vcc
	;; [unrolled: 2-line block ×3, first 2 shown]
	global_load_dwordx4 v[116:119], v223, s[6:7] offset:4000
	global_load_dwordx4 v[0:3], v[8:9], off
	global_load_dwordx4 v[4:7], v[10:11], off
	global_load_dwordx4 v[128:131], v[16:17], off offset:1904
	s_nop 0
	global_load_dwordx4 v[8:11], v[12:13], off
	global_load_dwordx4 v[120:123], v[16:17], off offset:3904
	global_load_dwordx4 v[124:127], v[18:19], off offset:1808
	s_nop 0
	global_load_dwordx4 v[12:15], v[32:33], off
	global_load_dwordx4 v[148:151], v223, s[6:7] offset:880
	global_load_dwordx4 v[144:147], v223, s[6:7] offset:2880
	global_load_dwordx4 v[194:197], v[18:19], off offset:3808
	global_load_dwordx4 v[140:143], v[16:17], off offset:784
	;; [unrolled: 1-line block ×4, first 2 shown]
	s_movk_i32 s0, 0x3000
	global_load_dwordx4 v[32:35], v[35:36], off
	s_mul_hi_u32 s1, s12, 0xfffffb55
	global_load_dwordx4 v[36:39], v[44:45], off
	s_sub_i32 s1, s1, s12
	s_waitcnt vmcnt(18)
	v_mul_f64 v[40:41], v[22:23], v[56:57]
	v_mul_f64 v[42:43], v[20:21], v[56:57]
	s_waitcnt vmcnt(16)
	v_mul_f64 v[46:47], v[30:31], v[52:53]
	v_mul_f64 v[48:49], v[28:29], v[52:53]
	v_fma_f64 v[40:41], v[20:21], v[54:55], v[40:41]
	buffer_store_dword v54, off, s[40:43], 0 offset:160 ; 4-byte Folded Spill
	s_nop 0
	buffer_store_dword v55, off, s[40:43], 0 offset:164 ; 4-byte Folded Spill
	buffer_store_dword v56, off, s[40:43], 0 offset:168 ; 4-byte Folded Spill
	;; [unrolled: 1-line block ×3, first 2 shown]
	v_fma_f64 v[28:29], v[28:29], v[50:51], v[46:47]
	buffer_store_dword v50, off, s[40:43], 0 offset:144 ; 4-byte Folded Spill
	s_nop 0
	buffer_store_dword v51, off, s[40:43], 0 offset:148 ; 4-byte Folded Spill
	buffer_store_dword v52, off, s[40:43], 0 offset:152 ; 4-byte Folded Spill
	;; [unrolled: 1-line block ×3, first 2 shown]
	s_waitcnt vmcnt(22)
	v_mul_f64 v[100:101], v[2:3], v[118:119]
	v_mul_f64 v[102:103], v[0:1], v[118:119]
	s_waitcnt vmcnt(20)
	v_mul_f64 v[104:105], v[6:7], v[130:131]
	s_waitcnt vmcnt(18)
	;; [unrolled: 2-line block ×3, first 2 shown]
	v_mul_f64 v[112:113], v[14:15], v[126:127]
	v_mul_f64 v[106:107], v[4:5], v[130:131]
	;; [unrolled: 1-line block ×3, first 2 shown]
	v_fma_f64 v[0:1], v[0:1], v[116:117], v[100:101]
	v_fma_f64 v[4:5], v[4:5], v[128:129], v[104:105]
	;; [unrolled: 1-line block ×3, first 2 shown]
	v_fma_f64 v[42:43], v[22:23], v[54:55], -v[42:43]
	v_add_co_u32_e32 v22, vcc, s0, v192
	v_addc_co_u32_e32 v23, vcc, 0, v193, vcc
	v_add_co_u32_e32 v20, vcc, s16, v44
	v_addc_co_u32_e32 v21, vcc, v45, v25, vcc
	;; [unrolled: 2-line block ×3, first 2 shown]
	s_movk_i32 s0, 0x4000
	global_load_dwordx4 v[188:191], v[22:23], off offset:1712
	global_load_dwordx4 v[44:47], v[20:21], off
	global_load_dwordx4 v[180:183], v[22:23], off offset:3712
	v_add_co_u32_e32 v20, vcc, s0, v192
	v_addc_co_u32_e32 v21, vcc, 0, v193, vcc
	s_mul_i32 s0, s13, 0xfffffb55
	v_add_co_u32_e32 v56, vcc, s16, v52
	s_add_i32 s1, s1, s0
	s_mul_i32 s0, s12, 0xfffffb55
	v_addc_co_u32_e32 v57, vcc, v53, v25, vcc
	s_lshl_b64 s[0:1], s[0:1], 4
	v_mov_b32_e32 v24, s1
	v_add_co_u32_e32 v60, vcc, s0, v56
	v_addc_co_u32_e32 v61, vcc, v57, v24, vcc
	v_add_co_u32_e32 v64, vcc, s16, v60
	v_addc_co_u32_e32 v65, vcc, v61, v25, vcc
	;; [unrolled: 2-line block ×12, first 2 shown]
	v_fma_f64 v[30:31], v[30:31], v[50:51], -v[48:49]
	global_load_dwordx4 v[48:51], v[52:53], off
	global_load_dwordx4 v[168:171], v[20:21], off offset:1616
	s_nop 0
	global_load_dwordx4 v[52:55], v[56:57], off
	global_load_dwordx4 v[156:159], v[20:21], off offset:3616
	v_cmp_gt_u16_e32 vcc, 15, v254
	global_load_dwordx4 v[56:59], v[60:61], off
	s_nop 0
	global_load_dwordx4 v[60:63], v[64:65], off
	s_nop 0
	;; [unrolled: 2-line block ×5, first 2 shown]
	global_load_dwordx4 v[76:79], v[80:81], off
	global_load_dwordx4 v[152:155], v[18:19], off offset:2688
	s_nop 0
	global_load_dwordx4 v[80:83], v[84:85], off
	global_load_dwordx4 v[160:163], v[22:23], off offset:592
	s_nop 0
	;; [unrolled: 3-line block ×4, first 2 shown]
	global_load_dwordx4 v[92:95], v[96:97], off
	global_load_dwordx4 v[176:179], v[20:21], off offset:2496
	global_load_dwordx4 v[184:187], v[114:115], off offset:400
	v_mul_f64 v[114:115], v[12:13], v[126:127]
	global_load_dwordx4 v[96:99], v[24:25], off
	s_nop 0
	buffer_store_dword v116, off, s[40:43], 0 offset:128 ; 4-byte Folded Spill
	s_nop 0
	buffer_store_dword v117, off, s[40:43], 0 offset:132 ; 4-byte Folded Spill
	buffer_store_dword v118, off, s[40:43], 0 offset:136 ; 4-byte Folded Spill
	buffer_store_dword v119, off, s[40:43], 0 offset:140 ; 4-byte Folded Spill
	buffer_store_dword v128, off, s[40:43], 0 offset:208 ; 4-byte Folded Spill
	s_nop 0
	buffer_store_dword v129, off, s[40:43], 0 offset:212 ; 4-byte Folded Spill
	buffer_store_dword v130, off, s[40:43], 0 offset:216 ; 4-byte Folded Spill
	buffer_store_dword v131, off, s[40:43], 0 offset:220 ; 4-byte Folded Spill
	;; [unrolled: 5-line block ×3, first 2 shown]
	v_fma_f64 v[12:13], v[12:13], v[124:125], v[112:113]
	buffer_store_dword v124, off, s[40:43], 0 offset:192 ; 4-byte Folded Spill
	s_nop 0
	buffer_store_dword v125, off, s[40:43], 0 offset:196 ; 4-byte Folded Spill
	buffer_store_dword v126, off, s[40:43], 0 offset:200 ; 4-byte Folded Spill
	;; [unrolled: 1-line block ×3, first 2 shown]
	s_load_dwordx2 s[14:15], s[4:5], 0x38
	s_load_dwordx4 s[8:11], s[2:3], 0x0
	v_fma_f64 v[2:3], v[2:3], v[116:117], -v[102:103]
	v_fma_f64 v[6:7], v[6:7], v[128:129], -v[106:107]
	;; [unrolled: 1-line block ×4, first 2 shown]
	ds_write_b128 v223, v[40:43]
	ds_write_b128 v223, v[28:31] offset:2000
	ds_write_b128 v223, v[0:3] offset:4000
	;; [unrolled: 1-line block ×5, first 2 shown]
	s_waitcnt vmcnt(49)
	v_mul_f64 v[0:1], v[34:35], v[196:197]
	s_waitcnt vmcnt(39)
	v_mul_f64 v[4:5], v[38:39], v[190:191]
	v_mul_f64 v[2:3], v[32:33], v[196:197]
	;; [unrolled: 1-line block ×3, first 2 shown]
	s_waitcnt vmcnt(37)
	v_mul_f64 v[8:9], v[46:47], v[182:183]
	s_waitcnt vmcnt(35)
	v_mul_f64 v[12:13], v[50:51], v[170:171]
	;; [unrolled: 2-line block ×4, first 2 shown]
	v_fma_f64 v[0:1], v[32:33], v[194:195], v[0:1]
	buffer_store_dword v194, off, s[40:43], 0 offset:464 ; 4-byte Folded Spill
	s_nop 0
	buffer_store_dword v195, off, s[40:43], 0 offset:468 ; 4-byte Folded Spill
	buffer_store_dword v196, off, s[40:43], 0 offset:472 ; 4-byte Folded Spill
	;; [unrolled: 1-line block ×3, first 2 shown]
	v_fma_f64 v[4:5], v[36:37], v[188:189], v[4:5]
	buffer_store_dword v188, off, s[40:43], 0 offset:448 ; 4-byte Folded Spill
	s_nop 0
	buffer_store_dword v189, off, s[40:43], 0 offset:452 ; 4-byte Folded Spill
	buffer_store_dword v190, off, s[40:43], 0 offset:456 ; 4-byte Folded Spill
	;; [unrolled: 1-line block ×3, first 2 shown]
	v_mul_f64 v[32:33], v[58:59], v[150:151]
	v_mul_f64 v[36:37], v[62:63], v[146:147]
	;; [unrolled: 1-line block ×3, first 2 shown]
	v_fma_f64 v[8:9], v[44:45], v[180:181], v[8:9]
	buffer_store_dword v180, off, s[40:43], 0 offset:416 ; 4-byte Folded Spill
	s_nop 0
	buffer_store_dword v181, off, s[40:43], 0 offset:420 ; 4-byte Folded Spill
	buffer_store_dword v182, off, s[40:43], 0 offset:424 ; 4-byte Folded Spill
	;; [unrolled: 1-line block ×3, first 2 shown]
	v_mul_f64 v[14:15], v[48:49], v[170:171]
	v_fma_f64 v[12:13], v[48:49], v[168:169], v[12:13]
	buffer_store_dword v168, off, s[40:43], 0 offset:368 ; 4-byte Folded Spill
	s_nop 0
	buffer_store_dword v169, off, s[40:43], 0 offset:372 ; 4-byte Folded Spill
	buffer_store_dword v170, off, s[40:43], 0 offset:376 ; 4-byte Folded Spill
	;; [unrolled: 1-line block ×3, first 2 shown]
	v_mul_f64 v[30:31], v[52:53], v[158:159]
	v_fma_f64 v[28:29], v[52:53], v[156:157], v[28:29]
	buffer_store_dword v156, off, s[40:43], 0 offset:320 ; 4-byte Folded Spill
	s_nop 0
	buffer_store_dword v157, off, s[40:43], 0 offset:324 ; 4-byte Folded Spill
	buffer_store_dword v158, off, s[40:43], 0 offset:328 ; 4-byte Folded Spill
	;; [unrolled: 1-line block ×3, first 2 shown]
	v_fma_f64 v[32:33], v[56:57], v[148:149], v[32:33]
	v_fma_f64 v[36:37], v[60:61], v[144:145], v[36:37]
	v_mul_f64 v[42:43], v[64:65], v[142:143]
	v_fma_f64 v[40:41], v[64:65], v[140:141], v[40:41]
	v_fma_f64 v[2:3], v[34:35], v[194:195], -v[2:3]
	v_mul_f64 v[34:35], v[56:57], v[150:151]
	buffer_store_dword v148, off, s[40:43], 0 offset:288 ; 4-byte Folded Spill
	s_nop 0
	buffer_store_dword v149, off, s[40:43], 0 offset:292 ; 4-byte Folded Spill
	buffer_store_dword v150, off, s[40:43], 0 offset:296 ; 4-byte Folded Spill
	;; [unrolled: 1-line block ×3, first 2 shown]
	v_fma_f64 v[6:7], v[38:39], v[188:189], -v[6:7]
	v_mul_f64 v[38:39], v[60:61], v[146:147]
	buffer_store_dword v144, off, s[40:43], 0 offset:272 ; 4-byte Folded Spill
	s_nop 0
	buffer_store_dword v145, off, s[40:43], 0 offset:276 ; 4-byte Folded Spill
	buffer_store_dword v146, off, s[40:43], 0 offset:280 ; 4-byte Folded Spill
	;; [unrolled: 1-line block ×4, first 2 shown]
	s_nop 0
	buffer_store_dword v141, off, s[40:43], 0 offset:260 ; 4-byte Folded Spill
	buffer_store_dword v142, off, s[40:43], 0 offset:264 ; 4-byte Folded Spill
	;; [unrolled: 1-line block ×3, first 2 shown]
	v_fma_f64 v[10:11], v[46:47], v[180:181], -v[10:11]
	v_fma_f64 v[14:15], v[50:51], v[168:169], -v[14:15]
	;; [unrolled: 1-line block ×6, first 2 shown]
	ds_write_b128 v223, v[0:3] offset:12000
	ds_write_b128 v223, v[4:7] offset:14000
	;; [unrolled: 1-line block ×8, first 2 shown]
	s_waitcnt vmcnt(61)
	v_mul_f64 v[0:1], v[70:71], v[138:139]
	s_waitcnt vmcnt(60)
	v_mul_f64 v[4:5], v[74:75], v[134:135]
	;; [unrolled: 2-line block ×8, first 2 shown]
	v_mul_f64 v[2:3], v[68:69], v[138:139]
	v_fma_f64 v[0:1], v[68:69], v[136:137], v[0:1]
	buffer_store_dword v136, off, s[40:43], 0 offset:240 ; 4-byte Folded Spill
	s_nop 0
	buffer_store_dword v137, off, s[40:43], 0 offset:244 ; 4-byte Folded Spill
	buffer_store_dword v138, off, s[40:43], 0 offset:248 ; 4-byte Folded Spill
	buffer_store_dword v139, off, s[40:43], 0 offset:252 ; 4-byte Folded Spill
	v_mul_f64 v[6:7], v[72:73], v[134:135]
	v_fma_f64 v[4:5], v[72:73], v[132:133], v[4:5]
	buffer_store_dword v132, off, s[40:43], 0 offset:224 ; 4-byte Folded Spill
	s_nop 0
	buffer_store_dword v133, off, s[40:43], 0 offset:228 ; 4-byte Folded Spill
	buffer_store_dword v134, off, s[40:43], 0 offset:232 ; 4-byte Folded Spill
	buffer_store_dword v135, off, s[40:43], 0 offset:236 ; 4-byte Folded Spill
	;; [unrolled: 7-line block ×8, first 2 shown]
	v_fma_f64 v[2:3], v[70:71], v[136:137], -v[2:3]
	v_fma_f64 v[6:7], v[74:75], v[132:133], -v[6:7]
	;; [unrolled: 1-line block ×8, first 2 shown]
	ds_write_b128 v223, v[0:3] offset:6880
	ds_write_b128 v223, v[4:7] offset:8880
	;; [unrolled: 1-line block ×8, first 2 shown]
	s_and_saveexec_b64 s[2:3], vcc
	s_cbranch_execz .LBB0_3
; %bb.2:
	v_mov_b32_e32 v0, s1
	v_add_co_u32_e64 v4, s[0:1], s0, v24
	v_addc_co_u32_e64 v5, s[0:1], v25, v0, s[0:1]
	v_mov_b32_e32 v74, s17
	v_add_co_u32_e64 v24, s[0:1], s16, v4
	v_addc_co_u32_e64 v25, s[0:1], v5, v74, s[0:1]
	global_load_dwordx4 v[0:3], v[4:5], off
	s_nop 0
	global_load_dwordx4 v[4:7], v[24:25], off
	global_load_dwordx4 v[8:11], v[192:193], off offset:1760
	global_load_dwordx4 v[12:15], v[192:193], off offset:3760
	v_add_co_u32_e64 v24, s[0:1], s16, v24
	v_addc_co_u32_e64 v25, s[0:1], v25, v74, s[0:1]
	global_load_dwordx4 v[28:31], v[24:25], off
	v_add_co_u32_e64 v24, s[0:1], s16, v24
	v_addc_co_u32_e64 v25, s[0:1], v25, v74, s[0:1]
	global_load_dwordx4 v[32:35], v[24:25], off
	global_load_dwordx4 v[36:39], v[16:17], off offset:1664
	global_load_dwordx4 v[40:43], v[16:17], off offset:3664
	v_add_co_u32_e64 v16, s[0:1], s16, v24
	v_addc_co_u32_e64 v17, s[0:1], v25, v74, s[0:1]
	v_add_co_u32_e64 v24, s[0:1], s16, v16
	v_addc_co_u32_e64 v25, s[0:1], v17, v74, s[0:1]
	global_load_dwordx4 v[44:47], v[16:17], off
	global_load_dwordx4 v[48:51], v[24:25], off
	global_load_dwordx4 v[52:55], v[18:19], off offset:1568
	s_nop 0
	global_load_dwordx4 v[16:19], v[18:19], off offset:3568
	v_add_co_u32_e64 v24, s[0:1], s16, v24
	v_addc_co_u32_e64 v25, s[0:1], v25, v74, s[0:1]
	v_add_co_u32_e64 v68, s[0:1], s16, v24
	v_addc_co_u32_e64 v69, s[0:1], v25, v74, s[0:1]
	v_add_co_u32_e64 v72, s[0:1], s16, v68
	v_or_b32_e32 v87, 0x550, v254
	v_addc_co_u32_e64 v73, s[0:1], v69, v74, s[0:1]
	v_mad_u64_u32 v[84:85], s[0:1], s12, v87, 0
	global_load_dwordx4 v[56:59], v[24:25], off
	global_load_dwordx4 v[60:63], v[68:69], off
	global_load_dwordx4 v[64:67], v[22:23], off offset:1472
	s_nop 0
	global_load_dwordx4 v[22:25], v[22:23], off offset:3472
	s_waitcnt vmcnt(9)
	v_mul_f64 v[92:93], v[30:31], v[38:39]
	global_load_dwordx4 v[68:71], v[72:73], off
	v_add_co_u32_e64 v72, s[0:1], s16, v72
	v_addc_co_u32_e64 v73, s[0:1], v73, v74, s[0:1]
	v_mov_b32_e32 v74, v85
	v_mad_u64_u32 v[85:86], s[0:1], s13, v87, v[74:75]
	global_load_dwordx4 v[72:75], v[72:73], off
	s_nop 0
	global_load_dwordx4 v[76:79], v[20:21], off offset:1376
	global_load_dwordx4 v[80:83], v[20:21], off offset:3376
	v_mul_f64 v[38:39], v[28:29], v[38:39]
	v_lshlrev_b64 v[20:21], 4, v[84:85]
	s_waitcnt vmcnt(12)
	v_mul_f64 v[94:95], v[34:35], v[42:43]
	v_add_co_u32_e64 v20, s[0:1], v26, v20
	v_lshlrev_b32_e32 v26, 4, v87
	v_addc_co_u32_e64 v21, s[0:1], v27, v21, s[0:1]
	global_load_dwordx4 v[84:87], v26, s[6:7]
	global_load_dwordx4 v[88:91], v[20:21], off
	v_mul_f64 v[20:21], v[2:3], v[10:11]
	v_mul_f64 v[10:11], v[0:1], v[10:11]
	;; [unrolled: 1-line block ×5, first 2 shown]
	s_waitcnt vmcnt(11)
	v_mul_f64 v[96:97], v[46:47], v[54:55]
	v_mul_f64 v[54:55], v[44:45], v[54:55]
	v_fma_f64 v[0:1], v[0:1], v[8:9], v[20:21]
	v_fma_f64 v[2:3], v[2:3], v[8:9], -v[10:11]
	s_waitcnt vmcnt(10)
	v_mul_f64 v[20:21], v[50:51], v[18:19]
	v_mul_f64 v[18:19], v[48:49], v[18:19]
	v_fma_f64 v[4:5], v[4:5], v[12:13], v[26:27]
	v_fma_f64 v[6:7], v[6:7], v[12:13], -v[14:15]
	v_fma_f64 v[8:9], v[28:29], v[36:37], v[92:93]
	v_fma_f64 v[10:11], v[30:31], v[36:37], -v[38:39]
	s_waitcnt vmcnt(7)
	v_mul_f64 v[26:27], v[58:59], v[66:67]
	v_mul_f64 v[28:29], v[56:57], v[66:67]
	ds_write_b128 v223, v[0:3] offset:1760
	ds_write_b128 v223, v[4:7] offset:3760
	;; [unrolled: 1-line block ×3, first 2 shown]
	v_fma_f64 v[4:5], v[48:49], v[16:17], v[20:21]
	v_fma_f64 v[6:7], v[50:51], v[16:17], -v[18:19]
	s_waitcnt vmcnt(6)
	v_mul_f64 v[16:17], v[62:63], v[24:25]
	v_mul_f64 v[18:19], v[60:61], v[24:25]
	v_fma_f64 v[8:9], v[56:57], v[64:65], v[26:27]
	v_fma_f64 v[10:11], v[58:59], v[64:65], -v[28:29]
	v_fma_f64 v[12:13], v[32:33], v[40:41], v[94:95]
	v_fma_f64 v[14:15], v[34:35], v[40:41], -v[42:43]
	;; [unrolled: 2-line block ×4, first 2 shown]
	s_waitcnt vmcnt(3)
	v_mul_f64 v[20:21], v[70:71], v[78:79]
	v_mul_f64 v[24:25], v[68:69], v[78:79]
	s_waitcnt vmcnt(2)
	v_mul_f64 v[26:27], v[74:75], v[82:83]
	v_mul_f64 v[28:29], v[72:73], v[82:83]
	v_fma_f64 v[20:21], v[68:69], v[76:77], v[20:21]
	v_fma_f64 v[22:23], v[70:71], v[76:77], -v[24:25]
	s_waitcnt vmcnt(0)
	v_mul_f64 v[30:31], v[90:91], v[86:87]
	v_mul_f64 v[32:33], v[88:89], v[86:87]
	v_fma_f64 v[24:25], v[72:73], v[80:81], v[26:27]
	v_fma_f64 v[26:27], v[74:75], v[80:81], -v[28:29]
	v_fma_f64 v[28:29], v[88:89], v[84:85], v[30:31]
	v_fma_f64 v[30:31], v[90:91], v[84:85], -v[32:33]
	ds_write_b128 v223, v[12:15] offset:7760
	ds_write_b128 v223, v[0:3] offset:9760
	;; [unrolled: 1-line block ×8, first 2 shown]
.LBB0_3:
	s_or_b64 exec, exec, s[2:3]
	s_waitcnt lgkmcnt(0)
	; wave barrier
	s_waitcnt lgkmcnt(0)
	ds_read_b128 v[92:95], v223
	ds_read_b128 v[124:127], v223 offset:880
	ds_read_b128 v[100:103], v223 offset:2000
	;; [unrolled: 1-line block ×21, first 2 shown]
	s_load_dwordx2 s[2:3], s[4:5], 0x8
                                        ; implicit-def: $vgpr0_vgpr1
                                        ; implicit-def: $vgpr4_vgpr5
                                        ; implicit-def: $vgpr8_vgpr9
                                        ; implicit-def: $vgpr12_vgpr13
                                        ; implicit-def: $vgpr16_vgpr17
                                        ; implicit-def: $vgpr20_vgpr21
                                        ; implicit-def: $vgpr24_vgpr25
                                        ; implicit-def: $vgpr28_vgpr29
                                        ; implicit-def: $vgpr32_vgpr33
                                        ; implicit-def: $vgpr36_vgpr37
                                        ; implicit-def: $vgpr40_vgpr41
	s_and_saveexec_b64 s[0:1], vcc
	s_cbranch_execz .LBB0_5
; %bb.4:
	ds_read_b128 v[0:3], v223 offset:1760
	ds_read_b128 v[4:7], v223 offset:3760
	ds_read_b128 v[8:11], v223 offset:5760
	ds_read_b128 v[12:15], v223 offset:7760
	ds_read_b128 v[16:19], v223 offset:9760
	ds_read_b128 v[20:23], v223 offset:11760
	ds_read_b128 v[24:27], v223 offset:13760
	ds_read_b128 v[28:31], v223 offset:15760
	ds_read_b128 v[32:35], v223 offset:17760
	ds_read_b128 v[36:39], v223 offset:19760
	ds_read_b128 v[40:43], v223 offset:21760
.LBB0_5:
	s_or_b64 exec, exec, s[0:1]
	s_waitcnt lgkmcnt(0)
	v_add_f64 v[44:45], v[92:93], v[100:101]
	v_add_f64 v[46:47], v[94:95], v[102:103]
	;; [unrolled: 1-line block ×3, first 2 shown]
	v_add_f64 v[102:103], v[102:103], -v[114:115]
	s_mov_b32 s24, 0xf8bb580b
	s_mov_b32 s34, 0x8eee2c13
	;; [unrolled: 1-line block ×4, first 2 shown]
	v_add_f64 v[44:45], v[44:45], v[88:89]
	v_add_f64 v[46:47], v[46:47], v[90:91]
	s_mov_b32 s26, 0xfd768dbf
	s_mov_b32 s25, 0xbfe14ced
	;; [unrolled: 1-line block ×6, first 2 shown]
	v_add_f64 v[44:45], v[44:45], v[80:81]
	v_add_f64 v[46:47], v[46:47], v[82:83]
	;; [unrolled: 1-line block ×3, first 2 shown]
	v_add_f64 v[100:101], v[100:101], -v[112:113]
	v_mul_f64 v[144:145], v[102:103], s[34:35]
	v_mul_f64 v[152:153], v[102:103], s[20:21]
	;; [unrolled: 1-line block ×3, first 2 shown]
	v_add_co_u32_e64 v195, s[0:1], 55, v254
	v_add_f64 v[44:45], v[44:45], v[72:73]
	v_add_f64 v[46:47], v[46:47], v[74:75]
	s_movk_i32 s0, 0x6e
	v_add_co_u32_e64 v194, s[0:1], s0, v254
	s_mov_b32 s0, 0x8764f0ba
	s_mov_b32 s4, 0xd9c712b6
	s_mov_b32 s12, 0x640f44db
	v_add_f64 v[44:45], v[44:45], v[64:65]
	v_add_f64 v[46:47], v[46:47], v[66:67]
	s_mov_b32 s16, 0x7f775887
	s_mov_b32 s18, 0x9bcd5057
	;; [unrolled: 1-line block ×6, first 2 shown]
	v_add_f64 v[44:45], v[44:45], v[68:69]
	v_add_f64 v[46:47], v[46:47], v[70:71]
	s_mov_b32 s19, 0xbfeeb42a
	v_mul_f64 v[140:141], v[100:101], s[24:25]
	v_fma_f64 v[146:147], v[136:137], s[4:5], -v[144:145]
	v_mul_f64 v[148:149], v[100:101], s[34:35]
	v_fma_f64 v[144:145], v[136:137], s[4:5], v[144:145]
	v_fma_f64 v[154:155], v[136:137], s[12:13], -v[152:153]
	v_add_f64 v[44:45], v[44:45], v[76:77]
	v_add_f64 v[46:47], v[46:47], v[78:79]
	v_mul_f64 v[156:157], v[100:101], s[20:21]
	v_fma_f64 v[152:153], v[136:137], s[12:13], v[152:153]
	v_fma_f64 v[162:163], v[136:137], s[16:17], -v[160:161]
	v_mul_f64 v[164:165], v[100:101], s[22:23]
	v_fma_f64 v[160:161], v[136:137], s[16:17], v[160:161]
	v_mul_f64 v[100:101], v[100:101], s[26:27]
	v_add_f64 v[44:45], v[44:45], v[84:85]
	v_add_f64 v[46:47], v[46:47], v[86:87]
	v_fma_f64 v[142:143], v[138:139], s[0:1], v[140:141]
	v_fma_f64 v[140:141], v[138:139], s[0:1], -v[140:141]
	v_add_f64 v[146:147], v[92:93], v[146:147]
	v_fma_f64 v[150:151], v[138:139], s[4:5], v[148:149]
	v_add_f64 v[144:145], v[92:93], v[144:145]
	v_fma_f64 v[148:149], v[138:139], s[4:5], -v[148:149]
	v_add_f64 v[44:45], v[44:45], v[96:97]
	v_add_f64 v[46:47], v[46:47], v[98:99]
	;; [unrolled: 1-line block ×3, first 2 shown]
	v_fma_f64 v[158:159], v[138:139], s[12:13], v[156:157]
	v_add_f64 v[152:153], v[92:93], v[152:153]
	v_fma_f64 v[156:157], v[138:139], s[12:13], -v[156:157]
	v_add_f64 v[162:163], v[92:93], v[162:163]
	v_fma_f64 v[166:167], v[138:139], s[16:17], v[164:165]
	v_add_f64 v[44:45], v[44:45], v[112:113]
	v_mul_f64 v[112:113], v[102:103], s[24:25]
	v_mul_f64 v[102:103], v[102:103], s[26:27]
	v_add_f64 v[46:47], v[46:47], v[114:115]
	v_add_f64 v[160:161], v[92:93], v[160:161]
	v_fma_f64 v[164:165], v[138:139], s[16:17], -v[164:165]
	v_fma_f64 v[170:171], v[138:139], s[18:19], v[100:101]
	v_fma_f64 v[100:101], v[138:139], s[18:19], -v[100:101]
	v_add_f64 v[142:143], v[94:95], v[142:143]
	v_fma_f64 v[114:115], v[136:137], s[0:1], -v[112:113]
	v_fma_f64 v[112:113], v[136:137], s[0:1], v[112:113]
	v_fma_f64 v[168:169], v[136:137], s[18:19], -v[102:103]
	v_fma_f64 v[102:103], v[136:137], s[18:19], v[102:103]
	v_add_f64 v[140:141], v[94:95], v[140:141]
	v_add_f64 v[150:151], v[94:95], v[150:151]
	;; [unrolled: 1-line block ×9, first 2 shown]
	v_add_f64 v[90:91], v[90:91], -v[98:99]
	v_add_f64 v[156:157], v[94:95], v[156:157]
	v_add_f64 v[166:167], v[94:95], v[166:167]
	;; [unrolled: 1-line block ×6, first 2 shown]
	v_add_f64 v[88:89], v[88:89], -v[96:97]
	v_mul_f64 v[96:97], v[90:91], s[34:35]
	s_mov_b32 s39, 0x3fd207e7
	s_mov_b32 s38, s26
	;; [unrolled: 1-line block ×7, first 2 shown]
	v_fma_f64 v[98:99], v[100:101], s[4:5], -v[96:97]
	v_fma_f64 v[96:97], v[100:101], s[4:5], v[96:97]
	s_mov_b32 s30, s34
	v_add_f64 v[186:187], v[10:11], -v[38:39]
	v_add_f64 v[184:185], v[8:9], -v[36:37]
	;; [unrolled: 1-line block ×5, first 2 shown]
	v_add_f64 v[98:99], v[98:99], v[114:115]
	v_mul_f64 v[114:115], v[88:89], s[34:35]
	v_add_f64 v[96:97], v[96:97], v[112:113]
	v_fma_f64 v[136:137], v[102:103], s[4:5], v[114:115]
	v_fma_f64 v[112:113], v[102:103], s[4:5], -v[114:115]
	v_mul_f64 v[114:115], v[90:91], s[22:23]
	v_add_f64 v[136:137], v[136:137], v[142:143]
	v_add_f64 v[112:113], v[112:113], v[140:141]
	v_fma_f64 v[138:139], v[100:101], s[16:17], -v[114:115]
	v_mul_f64 v[140:141], v[88:89], s[22:23]
	v_fma_f64 v[114:115], v[100:101], s[16:17], v[114:115]
	v_add_f64 v[138:139], v[138:139], v[146:147]
	v_fma_f64 v[142:143], v[102:103], s[16:17], v[140:141]
	v_add_f64 v[114:115], v[114:115], v[144:145]
	v_fma_f64 v[140:141], v[102:103], s[16:17], -v[140:141]
	v_mul_f64 v[144:145], v[90:91], s[38:39]
	v_add_f64 v[142:143], v[142:143], v[150:151]
	v_add_f64 v[140:141], v[140:141], v[148:149]
	v_fma_f64 v[146:147], v[100:101], s[18:19], -v[144:145]
	v_mul_f64 v[148:149], v[88:89], s[38:39]
	v_fma_f64 v[144:145], v[100:101], s[18:19], v[144:145]
	v_add_f64 v[146:147], v[146:147], v[154:155]
	v_fma_f64 v[150:151], v[102:103], s[18:19], v[148:149]
	v_add_f64 v[144:145], v[144:145], v[152:153]
	v_fma_f64 v[148:149], v[102:103], s[18:19], -v[148:149]
	v_mul_f64 v[152:153], v[90:91], s[36:37]
	v_mul_f64 v[90:91], v[90:91], s[28:29]
	v_add_f64 v[150:151], v[150:151], v[158:159]
	v_add_f64 v[148:149], v[148:149], v[156:157]
	v_fma_f64 v[154:155], v[100:101], s[12:13], -v[152:153]
	v_mul_f64 v[156:157], v[88:89], s[36:37]
	v_mul_f64 v[88:89], v[88:89], s[28:29]
	v_fma_f64 v[152:153], v[100:101], s[12:13], v[152:153]
	v_add_f64 v[154:155], v[154:155], v[162:163]
	v_fma_f64 v[158:159], v[102:103], s[12:13], v[156:157]
	v_fma_f64 v[162:163], v[102:103], s[0:1], v[88:89]
	v_fma_f64 v[88:89], v[102:103], s[0:1], -v[88:89]
	v_add_f64 v[152:153], v[152:153], v[160:161]
	v_fma_f64 v[160:161], v[100:101], s[0:1], -v[90:91]
	v_fma_f64 v[90:91], v[100:101], s[0:1], v[90:91]
	v_fma_f64 v[156:157], v[102:103], s[12:13], -v[156:157]
	v_add_f64 v[158:159], v[158:159], v[166:167]
	v_add_f64 v[162:163], v[162:163], v[170:171]
	;; [unrolled: 1-line block ×4, first 2 shown]
	v_add_f64 v[82:83], v[82:83], -v[86:87]
	v_add_f64 v[90:91], v[90:91], v[92:93]
	v_add_f64 v[92:93], v[80:81], v[84:85]
	v_add_f64 v[80:81], v[80:81], -v[84:85]
	v_add_f64 v[156:157], v[156:157], v[164:165]
	v_add_f64 v[160:161], v[160:161], v[168:169]
	v_mul_f64 v[84:85], v[82:83], s[20:21]
	v_fma_f64 v[86:87], v[92:93], s[12:13], -v[84:85]
	v_fma_f64 v[84:85], v[92:93], s[12:13], v[84:85]
	v_add_f64 v[86:87], v[86:87], v[98:99]
	v_mul_f64 v[98:99], v[80:81], s[20:21]
	v_add_f64 v[84:85], v[84:85], v[96:97]
	v_fma_f64 v[100:101], v[94:95], s[12:13], v[98:99]
	v_fma_f64 v[96:97], v[94:95], s[12:13], -v[98:99]
	v_mul_f64 v[98:99], v[82:83], s[38:39]
	v_add_f64 v[100:101], v[100:101], v[136:137]
	v_add_f64 v[96:97], v[96:97], v[112:113]
	v_fma_f64 v[102:103], v[92:93], s[18:19], -v[98:99]
	v_fma_f64 v[98:99], v[92:93], s[18:19], v[98:99]
	v_mul_f64 v[112:113], v[80:81], s[38:39]
	v_add_f64 v[102:103], v[102:103], v[138:139]
	v_add_f64 v[98:99], v[98:99], v[114:115]
	v_mul_f64 v[114:115], v[82:83], s[30:31]
	v_fma_f64 v[136:137], v[94:95], s[18:19], v[112:113]
	v_fma_f64 v[112:113], v[94:95], s[18:19], -v[112:113]
	v_fma_f64 v[138:139], v[92:93], s[4:5], -v[114:115]
	v_fma_f64 v[114:115], v[92:93], s[4:5], v[114:115]
	v_add_f64 v[112:113], v[112:113], v[140:141]
	v_mul_f64 v[140:141], v[80:81], s[30:31]
	v_add_f64 v[136:137], v[136:137], v[142:143]
	v_add_f64 v[138:139], v[138:139], v[146:147]
	;; [unrolled: 1-line block ×3, first 2 shown]
	v_mul_f64 v[144:145], v[82:83], s[24:25]
	v_fma_f64 v[142:143], v[94:95], s[4:5], v[140:141]
	v_fma_f64 v[140:141], v[94:95], s[4:5], -v[140:141]
	v_mul_f64 v[82:83], v[82:83], s[22:23]
	v_fma_f64 v[146:147], v[92:93], s[0:1], -v[144:145]
	v_fma_f64 v[144:145], v[92:93], s[0:1], v[144:145]
	v_add_f64 v[140:141], v[140:141], v[148:149]
	v_mul_f64 v[148:149], v[80:81], s[24:25]
	v_mul_f64 v[80:81], v[80:81], s[22:23]
	v_add_f64 v[142:143], v[142:143], v[150:151]
	v_add_f64 v[146:147], v[146:147], v[154:155]
	;; [unrolled: 1-line block ×3, first 2 shown]
	v_fma_f64 v[152:153], v[92:93], s[16:17], -v[82:83]
	v_fma_f64 v[82:83], v[92:93], s[16:17], v[82:83]
	v_fma_f64 v[154:155], v[94:95], s[16:17], v[80:81]
	v_fma_f64 v[80:81], v[94:95], s[16:17], -v[80:81]
	v_fma_f64 v[150:151], v[94:95], s[0:1], v[148:149]
	v_fma_f64 v[148:149], v[94:95], s[0:1], -v[148:149]
	v_add_f64 v[152:153], v[152:153], v[160:161]
	v_add_f64 v[82:83], v[82:83], v[90:91]
	;; [unrolled: 1-line block ×3, first 2 shown]
	v_add_f64 v[74:75], v[74:75], -v[78:79]
	v_add_f64 v[80:81], v[80:81], v[88:89]
	v_add_f64 v[88:89], v[72:73], v[76:77]
	v_add_f64 v[72:73], v[72:73], -v[76:77]
	v_add_f64 v[148:149], v[148:149], v[156:157]
	v_add_f64 v[154:155], v[154:155], v[162:163]
	v_add_f64 v[160:161], v[66:67], -v[70:71]
	v_add_f64 v[150:151], v[150:151], v[158:159]
	v_mul_f64 v[76:77], v[74:75], s[22:23]
	v_add_f64 v[158:159], v[64:65], -v[68:69]
	v_add_f64 v[156:157], v[66:67], v[70:71]
	v_fma_f64 v[78:79], v[88:89], s[16:17], -v[76:77]
	v_fma_f64 v[76:77], v[88:89], s[16:17], v[76:77]
	v_add_f64 v[78:79], v[78:79], v[86:87]
	v_mul_f64 v[86:87], v[72:73], s[22:23]
	v_add_f64 v[76:77], v[76:77], v[84:85]
	v_fma_f64 v[92:93], v[90:91], s[16:17], v[86:87]
	v_fma_f64 v[84:85], v[90:91], s[16:17], -v[86:87]
	v_mul_f64 v[86:87], v[74:75], s[36:37]
	v_add_f64 v[92:93], v[92:93], v[100:101]
	v_add_f64 v[84:85], v[84:85], v[96:97]
	v_fma_f64 v[94:95], v[88:89], s[12:13], -v[86:87]
	v_mul_f64 v[96:97], v[72:73], s[36:37]
	v_fma_f64 v[86:87], v[88:89], s[12:13], v[86:87]
	v_add_f64 v[94:95], v[94:95], v[102:103]
	v_fma_f64 v[100:101], v[90:91], s[12:13], v[96:97]
	v_add_f64 v[98:99], v[86:87], v[98:99]
	v_fma_f64 v[86:87], v[90:91], s[12:13], -v[96:97]
	v_add_f64 v[100:101], v[100:101], v[136:137]
	v_add_f64 v[96:97], v[86:87], v[112:113]
	v_mul_f64 v[86:87], v[74:75], s[24:25]
	v_mul_f64 v[112:113], v[72:73], s[24:25]
	v_fma_f64 v[102:103], v[88:89], s[0:1], -v[86:87]
	v_fma_f64 v[86:87], v[88:89], s[0:1], v[86:87]
	v_fma_f64 v[136:137], v[90:91], s[0:1], v[112:113]
	v_add_f64 v[102:103], v[102:103], v[138:139]
	v_add_f64 v[114:115], v[86:87], v[114:115]
	v_fma_f64 v[86:87], v[90:91], s[0:1], -v[112:113]
	v_add_f64 v[136:137], v[136:137], v[142:143]
	v_add_f64 v[112:113], v[86:87], v[140:141]
	v_mul_f64 v[86:87], v[74:75], s[26:27]
	v_mul_f64 v[140:141], v[72:73], s[26:27]
	;; [unrolled: 1-line block ×4, first 2 shown]
	v_fma_f64 v[138:139], v[88:89], s[18:19], -v[86:87]
	v_fma_f64 v[86:87], v[88:89], s[18:19], v[86:87]
	v_fma_f64 v[142:143], v[90:91], s[18:19], v[140:141]
	v_add_f64 v[138:139], v[138:139], v[146:147]
	v_add_f64 v[144:145], v[86:87], v[144:145]
	v_fma_f64 v[86:87], v[90:91], s[18:19], -v[140:141]
	v_add_f64 v[142:143], v[142:143], v[150:151]
	v_add_f64 v[140:141], v[86:87], v[148:149]
	v_fma_f64 v[86:87], v[88:89], s[4:5], -v[74:75]
	v_fma_f64 v[74:75], v[88:89], s[4:5], v[74:75]
	v_add_f64 v[146:147], v[86:87], v[152:153]
	v_fma_f64 v[86:87], v[90:91], s[4:5], v[72:73]
	v_fma_f64 v[72:73], v[90:91], s[4:5], -v[72:73]
	v_add_f64 v[150:151], v[74:75], v[82:83]
	v_add_f64 v[148:149], v[86:87], v[154:155]
	;; [unrolled: 1-line block ×3, first 2 shown]
	v_mul_f64 v[64:65], v[160:161], s[26:27]
	v_add_f64 v[152:153], v[72:73], v[80:81]
	v_mul_f64 v[72:73], v[160:161], s[28:29]
	v_fma_f64 v[66:67], v[154:155], s[18:19], -v[64:65]
	v_fma_f64 v[64:65], v[154:155], s[18:19], v[64:65]
	v_fma_f64 v[74:75], v[154:155], s[0:1], -v[72:73]
	v_fma_f64 v[72:73], v[154:155], s[0:1], v[72:73]
	v_add_f64 v[68:69], v[66:67], v[78:79]
	v_mul_f64 v[66:67], v[158:159], s[26:27]
	v_add_f64 v[64:65], v[64:65], v[76:77]
	v_add_f64 v[72:73], v[72:73], v[98:99]
	v_fma_f64 v[70:71], v[156:157], s[18:19], v[66:67]
	v_fma_f64 v[66:67], v[156:157], s[18:19], -v[66:67]
	v_add_f64 v[70:71], v[70:71], v[92:93]
	v_add_f64 v[66:67], v[66:67], v[84:85]
	;; [unrolled: 1-line block ×3, first 2 shown]
	v_mul_f64 v[74:75], v[158:159], s[28:29]
	v_fma_f64 v[76:77], v[156:157], s[0:1], v[74:75]
	v_fma_f64 v[74:75], v[156:157], s[0:1], -v[74:75]
	v_add_f64 v[86:87], v[76:77], v[100:101]
	v_mul_f64 v[76:77], v[160:161], s[22:23]
	v_add_f64 v[74:75], v[74:75], v[96:97]
	v_mul_f64 v[96:97], v[160:161], s[20:21]
	v_fma_f64 v[78:79], v[154:155], s[16:17], -v[76:77]
	v_fma_f64 v[76:77], v[154:155], s[16:17], v[76:77]
	v_fma_f64 v[98:99], v[154:155], s[12:13], -v[96:97]
	v_fma_f64 v[96:97], v[154:155], s[12:13], v[96:97]
	v_add_f64 v[88:89], v[78:79], v[102:103]
	v_mul_f64 v[78:79], v[158:159], s[22:23]
	v_add_f64 v[76:77], v[76:77], v[114:115]
	v_add_f64 v[114:115], v[126:127], v[130:131]
	;; [unrolled: 1-line block ×3, first 2 shown]
	v_mul_f64 v[98:99], v[158:159], s[20:21]
	v_add_f64 v[96:97], v[96:97], v[150:151]
	v_fma_f64 v[80:81], v[156:157], s[16:17], v[78:79]
	v_fma_f64 v[78:79], v[156:157], s[16:17], -v[78:79]
	v_add_f64 v[114:115], v[114:115], v[118:119]
	v_fma_f64 v[102:103], v[156:157], s[12:13], v[98:99]
	v_fma_f64 v[98:99], v[156:157], s[12:13], -v[98:99]
	v_add_f64 v[90:91], v[80:81], v[136:137]
	v_add_f64 v[78:79], v[78:79], v[112:113]
	;; [unrolled: 1-line block ×4, first 2 shown]
	v_mul_f64 v[80:81], v[160:161], s[30:31]
	v_add_f64 v[98:99], v[98:99], v[152:153]
	v_add_f64 v[136:137], v[128:129], v[132:133]
	v_add_f64 v[128:129], v[128:129], -v[132:133]
	v_add_f64 v[102:103], v[102:103], v[148:149]
	v_add_f64 v[112:113], v[112:113], v[116:117]
	;; [unrolled: 1-line block ×3, first 2 shown]
	v_fma_f64 v[82:83], v[154:155], s[4:5], -v[80:81]
	v_fma_f64 v[80:81], v[154:155], s[4:5], v[80:81]
	v_mul_f64 v[148:149], v[128:129], s[34:35]
	v_mul_f64 v[164:165], v[128:129], s[22:23]
	v_add_f64 v[112:113], v[112:113], v[104:105]
	v_add_f64 v[114:115], v[114:115], v[50:51]
	;; [unrolled: 1-line block ×3, first 2 shown]
	v_mul_f64 v[82:83], v[158:159], s[30:31]
	v_add_f64 v[138:139], v[130:131], v[134:135]
	v_add_f64 v[130:131], v[130:131], -v[134:135]
	v_add_f64 v[80:81], v[80:81], v[144:145]
	v_add_f64 v[112:113], v[112:113], v[56:57]
	;; [unrolled: 1-line block ×3, first 2 shown]
	v_fma_f64 v[94:95], v[156:157], s[4:5], v[82:83]
	v_fma_f64 v[82:83], v[156:157], s[4:5], -v[82:83]
	v_mul_f64 v[144:145], v[130:131], s[34:35]
	v_mul_f64 v[152:153], v[130:131], s[20:21]
	;; [unrolled: 1-line block ×3, first 2 shown]
	v_add_f64 v[112:113], v[112:113], v[48:49]
	v_add_f64 v[114:115], v[114:115], v[62:63]
	v_mul_f64 v[156:157], v[128:129], s[20:21]
	v_add_f64 v[94:95], v[94:95], v[142:143]
	v_add_f64 v[82:83], v[82:83], v[140:141]
	v_mul_f64 v[140:141], v[128:129], s[24:25]
	v_fma_f64 v[146:147], v[136:137], s[4:5], -v[144:145]
	v_fma_f64 v[144:145], v[136:137], s[4:5], v[144:145]
	v_add_f64 v[112:113], v[112:113], v[52:53]
	v_add_f64 v[114:115], v[114:115], v[110:111]
	v_fma_f64 v[154:155], v[136:137], s[12:13], -v[152:153]
	v_fma_f64 v[152:153], v[136:137], s[12:13], v[152:153]
	v_fma_f64 v[162:163], v[136:137], s[16:17], -v[160:161]
	v_fma_f64 v[160:161], v[136:137], s[16:17], v[160:161]
	v_mul_f64 v[128:129], v[128:129], s[26:27]
	v_fma_f64 v[142:143], v[138:139], s[0:1], v[140:141]
	v_add_f64 v[112:113], v[112:113], v[60:61]
	v_add_f64 v[114:115], v[114:115], v[122:123]
	v_fma_f64 v[140:141], v[138:139], s[0:1], -v[140:141]
	v_add_f64 v[146:147], v[124:125], v[146:147]
	v_fma_f64 v[150:151], v[138:139], s[4:5], v[148:149]
	v_add_f64 v[144:145], v[124:125], v[144:145]
	v_fma_f64 v[148:149], v[138:139], s[4:5], -v[148:149]
	v_add_f64 v[154:155], v[124:125], v[154:155]
	v_add_f64 v[112:113], v[112:113], v[108:109]
	v_add_f64 v[114:115], v[114:115], v[134:135]
	v_fma_f64 v[158:159], v[138:139], s[12:13], v[156:157]
	v_add_f64 v[152:153], v[124:125], v[152:153]
	v_fma_f64 v[156:157], v[138:139], s[12:13], -v[156:157]
	v_add_f64 v[162:163], v[124:125], v[162:163]
	v_fma_f64 v[166:167], v[138:139], s[16:17], v[164:165]
	v_add_f64 v[160:161], v[124:125], v[160:161]
	v_add_f64 v[112:113], v[112:113], v[120:121]
	v_fma_f64 v[164:165], v[138:139], s[16:17], -v[164:165]
	v_fma_f64 v[170:171], v[138:139], s[18:19], v[128:129]
	v_fma_f64 v[128:129], v[138:139], s[18:19], -v[128:129]
	v_add_f64 v[142:143], v[126:127], v[142:143]
	v_add_f64 v[140:141], v[126:127], v[140:141]
	;; [unrolled: 1-line block ×5, first 2 shown]
	v_mul_f64 v[132:133], v[130:131], s[24:25]
	v_mul_f64 v[130:131], v[130:131], s[26:27]
	v_add_f64 v[158:159], v[126:127], v[158:159]
	v_add_f64 v[156:157], v[126:127], v[156:157]
	;; [unrolled: 1-line block ×6, first 2 shown]
	v_fma_f64 v[134:135], v[136:137], s[0:1], -v[132:133]
	v_fma_f64 v[132:133], v[136:137], s[0:1], v[132:133]
	v_fma_f64 v[168:169], v[136:137], s[18:19], -v[130:131]
	v_fma_f64 v[130:131], v[136:137], s[18:19], v[130:131]
	v_add_f64 v[128:129], v[116:117], v[120:121]
	v_add_f64 v[116:117], v[116:117], -v[120:121]
	v_add_f64 v[134:135], v[124:125], v[134:135]
	v_add_f64 v[132:133], v[124:125], v[132:133]
	;; [unrolled: 1-line block ×5, first 2 shown]
	v_add_f64 v[118:119], v[118:119], -v[122:123]
	v_mul_f64 v[120:121], v[118:119], s[34:35]
	v_fma_f64 v[122:123], v[128:129], s[4:5], -v[120:121]
	v_fma_f64 v[120:121], v[128:129], s[4:5], v[120:121]
	v_add_f64 v[122:123], v[122:123], v[134:135]
	v_mul_f64 v[134:135], v[116:117], s[34:35]
	v_add_f64 v[120:121], v[120:121], v[132:133]
	v_fma_f64 v[136:137], v[130:131], s[4:5], v[134:135]
	v_fma_f64 v[132:133], v[130:131], s[4:5], -v[134:135]
	v_mul_f64 v[134:135], v[118:119], s[22:23]
	v_add_f64 v[136:137], v[136:137], v[142:143]
	v_add_f64 v[132:133], v[132:133], v[140:141]
	v_fma_f64 v[138:139], v[128:129], s[16:17], -v[134:135]
	v_mul_f64 v[140:141], v[116:117], s[22:23]
	v_fma_f64 v[134:135], v[128:129], s[16:17], v[134:135]
	v_add_f64 v[138:139], v[138:139], v[146:147]
	v_fma_f64 v[142:143], v[130:131], s[16:17], v[140:141]
	v_add_f64 v[134:135], v[134:135], v[144:145]
	v_fma_f64 v[140:141], v[130:131], s[16:17], -v[140:141]
	v_mul_f64 v[144:145], v[118:119], s[38:39]
	v_add_f64 v[142:143], v[142:143], v[150:151]
	v_add_f64 v[140:141], v[140:141], v[148:149]
	v_fma_f64 v[146:147], v[128:129], s[18:19], -v[144:145]
	v_mul_f64 v[148:149], v[116:117], s[38:39]
	v_fma_f64 v[144:145], v[128:129], s[18:19], v[144:145]
	v_add_f64 v[146:147], v[146:147], v[154:155]
	v_fma_f64 v[150:151], v[130:131], s[18:19], v[148:149]
	v_add_f64 v[144:145], v[144:145], v[152:153]
	v_fma_f64 v[148:149], v[130:131], s[18:19], -v[148:149]
	v_mul_f64 v[152:153], v[118:119], s[36:37]
	v_mul_f64 v[118:119], v[118:119], s[28:29]
	v_add_f64 v[150:151], v[150:151], v[158:159]
	v_add_f64 v[148:149], v[148:149], v[156:157]
	v_fma_f64 v[154:155], v[128:129], s[12:13], -v[152:153]
	v_mul_f64 v[156:157], v[116:117], s[36:37]
	v_mul_f64 v[116:117], v[116:117], s[28:29]
	v_fma_f64 v[152:153], v[128:129], s[12:13], v[152:153]
	v_add_f64 v[154:155], v[154:155], v[162:163]
	v_fma_f64 v[158:159], v[130:131], s[12:13], v[156:157]
	v_fma_f64 v[162:163], v[130:131], s[0:1], v[116:117]
	v_fma_f64 v[116:117], v[130:131], s[0:1], -v[116:117]
	v_add_f64 v[152:153], v[152:153], v[160:161]
	v_fma_f64 v[160:161], v[128:129], s[0:1], -v[118:119]
	v_fma_f64 v[118:119], v[128:129], s[0:1], v[118:119]
	v_fma_f64 v[156:157], v[130:131], s[12:13], -v[156:157]
	v_add_f64 v[158:159], v[158:159], v[166:167]
	v_add_f64 v[162:163], v[162:163], v[170:171]
	;; [unrolled: 1-line block ×4, first 2 shown]
	v_add_f64 v[106:107], v[106:107], -v[110:111]
	v_add_f64 v[118:119], v[118:119], v[124:125]
	v_add_f64 v[124:125], v[104:105], v[108:109]
	v_add_f64 v[104:105], v[104:105], -v[108:109]
	v_add_f64 v[160:161], v[160:161], v[168:169]
	v_add_f64 v[156:157], v[156:157], v[164:165]
	v_mul_f64 v[108:109], v[106:107], s[20:21]
	v_fma_f64 v[110:111], v[124:125], s[12:13], -v[108:109]
	v_fma_f64 v[108:109], v[124:125], s[12:13], v[108:109]
	v_add_f64 v[110:111], v[110:111], v[122:123]
	v_mul_f64 v[122:123], v[104:105], s[20:21]
	v_add_f64 v[108:109], v[108:109], v[120:121]
	v_fma_f64 v[128:129], v[126:127], s[12:13], v[122:123]
	v_fma_f64 v[120:121], v[126:127], s[12:13], -v[122:123]
	v_mul_f64 v[122:123], v[106:107], s[38:39]
	v_add_f64 v[128:129], v[128:129], v[136:137]
	v_add_f64 v[120:121], v[120:121], v[132:133]
	v_fma_f64 v[130:131], v[124:125], s[18:19], -v[122:123]
	v_fma_f64 v[122:123], v[124:125], s[18:19], v[122:123]
	v_mul_f64 v[132:133], v[104:105], s[38:39]
	v_add_f64 v[130:131], v[130:131], v[138:139]
	v_add_f64 v[122:123], v[122:123], v[134:135]
	v_mul_f64 v[134:135], v[106:107], s[30:31]
	v_fma_f64 v[136:137], v[126:127], s[18:19], v[132:133]
	v_fma_f64 v[132:133], v[126:127], s[18:19], -v[132:133]
	v_fma_f64 v[138:139], v[124:125], s[4:5], -v[134:135]
	v_fma_f64 v[134:135], v[124:125], s[4:5], v[134:135]
	v_add_f64 v[132:133], v[132:133], v[140:141]
	v_mul_f64 v[140:141], v[104:105], s[30:31]
	v_add_f64 v[136:137], v[136:137], v[142:143]
	v_add_f64 v[138:139], v[138:139], v[146:147]
	;; [unrolled: 1-line block ×3, first 2 shown]
	v_mul_f64 v[144:145], v[106:107], s[24:25]
	v_fma_f64 v[142:143], v[126:127], s[4:5], v[140:141]
	v_fma_f64 v[140:141], v[126:127], s[4:5], -v[140:141]
	v_mul_f64 v[106:107], v[106:107], s[22:23]
	v_fma_f64 v[146:147], v[124:125], s[0:1], -v[144:145]
	v_fma_f64 v[144:145], v[124:125], s[0:1], v[144:145]
	v_add_f64 v[140:141], v[140:141], v[148:149]
	v_mul_f64 v[148:149], v[104:105], s[24:25]
	v_mul_f64 v[104:105], v[104:105], s[22:23]
	v_add_f64 v[142:143], v[142:143], v[150:151]
	v_add_f64 v[146:147], v[146:147], v[154:155]
	;; [unrolled: 1-line block ×3, first 2 shown]
	v_fma_f64 v[152:153], v[124:125], s[16:17], -v[106:107]
	v_fma_f64 v[106:107], v[124:125], s[16:17], v[106:107]
	v_fma_f64 v[154:155], v[126:127], s[16:17], v[104:105]
	v_fma_f64 v[104:105], v[126:127], s[16:17], -v[104:105]
	v_fma_f64 v[150:151], v[126:127], s[0:1], v[148:149]
	v_fma_f64 v[148:149], v[126:127], s[0:1], -v[148:149]
	v_add_f64 v[152:153], v[152:153], v[160:161]
	v_add_f64 v[106:107], v[106:107], v[118:119]
	;; [unrolled: 1-line block ×3, first 2 shown]
	v_add_f64 v[58:59], v[58:59], -v[62:63]
	v_add_f64 v[104:105], v[104:105], v[116:117]
	v_add_f64 v[116:117], v[56:57], v[60:61]
	v_add_f64 v[56:57], v[56:57], -v[60:61]
	v_add_f64 v[150:151], v[150:151], v[158:159]
	v_add_f64 v[158:159], v[50:51], -v[54:55]
	v_add_f64 v[148:149], v[148:149], v[156:157]
	v_add_f64 v[154:155], v[154:155], v[162:163]
	v_mul_f64 v[60:61], v[58:59], s[22:23]
	v_add_f64 v[156:157], v[48:49], -v[52:53]
	v_mul_f64 v[126:127], v[56:57], s[36:37]
	v_fma_f64 v[62:63], v[116:117], s[16:17], -v[60:61]
	v_fma_f64 v[60:61], v[116:117], s[16:17], v[60:61]
	v_add_f64 v[62:63], v[62:63], v[110:111]
	v_mul_f64 v[110:111], v[56:57], s[22:23]
	v_add_f64 v[60:61], v[60:61], v[108:109]
	v_fma_f64 v[124:125], v[118:119], s[16:17], v[110:111]
	v_fma_f64 v[108:109], v[118:119], s[16:17], -v[110:111]
	v_mul_f64 v[110:111], v[58:59], s[36:37]
	v_add_f64 v[124:125], v[124:125], v[128:129]
	v_add_f64 v[108:109], v[108:109], v[120:121]
	v_fma_f64 v[120:121], v[116:117], s[12:13], -v[110:111]
	v_fma_f64 v[110:111], v[116:117], s[12:13], v[110:111]
	v_fma_f64 v[128:129], v[118:119], s[12:13], v[126:127]
	v_add_f64 v[120:121], v[120:121], v[130:131]
	v_add_f64 v[110:111], v[110:111], v[122:123]
	v_fma_f64 v[122:123], v[118:119], s[12:13], -v[126:127]
	v_mul_f64 v[126:127], v[58:59], s[24:25]
	v_add_f64 v[128:129], v[128:129], v[136:137]
	v_add_f64 v[122:123], v[122:123], v[132:133]
	v_fma_f64 v[130:131], v[116:117], s[0:1], -v[126:127]
	v_fma_f64 v[126:127], v[116:117], s[0:1], v[126:127]
	v_mul_f64 v[132:133], v[56:57], s[24:25]
	v_add_f64 v[130:131], v[130:131], v[138:139]
	v_add_f64 v[126:127], v[126:127], v[134:135]
	v_mul_f64 v[134:135], v[58:59], s[26:27]
	v_fma_f64 v[136:137], v[118:119], s[0:1], v[132:133]
	v_fma_f64 v[132:133], v[118:119], s[0:1], -v[132:133]
	v_mul_f64 v[58:59], v[58:59], s[30:31]
	v_fma_f64 v[138:139], v[116:117], s[18:19], -v[134:135]
	v_fma_f64 v[134:135], v[116:117], s[18:19], v[134:135]
	v_add_f64 v[132:133], v[132:133], v[140:141]
	v_mul_f64 v[140:141], v[56:57], s[26:27]
	v_mul_f64 v[56:57], v[56:57], s[30:31]
	v_add_f64 v[136:137], v[136:137], v[142:143]
	v_add_f64 v[138:139], v[138:139], v[146:147]
	;; [unrolled: 1-line block ×3, first 2 shown]
	v_fma_f64 v[144:145], v[116:117], s[4:5], -v[58:59]
	v_fma_f64 v[142:143], v[118:119], s[18:19], v[140:141]
	v_fma_f64 v[146:147], v[118:119], s[4:5], v[56:57]
	v_fma_f64 v[56:57], v[118:119], s[4:5], -v[56:57]
	v_fma_f64 v[140:141], v[118:119], s[18:19], -v[140:141]
	v_fma_f64 v[58:59], v[116:117], s[4:5], v[58:59]
	v_add_f64 v[144:145], v[144:145], v[152:153]
	v_add_f64 v[152:153], v[48:49], v[52:53]
	v_mul_f64 v[48:49], v[158:159], s[26:27]
	v_add_f64 v[142:143], v[142:143], v[150:151]
	v_add_f64 v[146:147], v[146:147], v[154:155]
	;; [unrolled: 1-line block ×4, first 2 shown]
	v_mul_f64 v[56:57], v[158:159], s[28:29]
	v_add_f64 v[140:141], v[140:141], v[148:149]
	v_add_f64 v[148:149], v[58:59], v[106:107]
	v_fma_f64 v[50:51], v[152:153], s[18:19], -v[48:49]
	v_fma_f64 v[48:49], v[152:153], s[18:19], v[48:49]
	v_mul_f64 v[104:105], v[158:159], s[22:23]
	v_fma_f64 v[58:59], v[152:153], s[0:1], -v[56:57]
	v_fma_f64 v[56:57], v[152:153], s[0:1], v[56:57]
	v_add_f64 v[52:53], v[50:51], v[62:63]
	v_mul_f64 v[50:51], v[156:157], s[26:27]
	v_add_f64 v[48:49], v[48:49], v[60:61]
	v_fma_f64 v[106:107], v[152:153], s[16:17], -v[104:105]
	v_fma_f64 v[104:105], v[152:153], s[16:17], v[104:105]
	v_add_f64 v[60:61], v[58:59], v[120:121]
	v_mul_f64 v[58:59], v[156:157], s[28:29]
	v_add_f64 v[56:57], v[56:57], v[110:111]
	v_mul_f64 v[120:121], v[158:159], s[30:31]
	v_fma_f64 v[54:55], v[154:155], s[18:19], v[50:51]
	v_fma_f64 v[50:51], v[154:155], s[18:19], -v[50:51]
	v_add_f64 v[104:105], v[104:105], v[126:127]
	v_fma_f64 v[62:63], v[154:155], s[0:1], v[58:59]
	v_fma_f64 v[58:59], v[154:155], s[0:1], -v[58:59]
	v_fma_f64 v[116:117], v[152:153], s[4:5], -v[120:121]
	v_add_f64 v[54:55], v[54:55], v[124:125]
	v_add_f64 v[50:51], v[50:51], v[108:109]
	;; [unrolled: 1-line block ×3, first 2 shown]
	v_mul_f64 v[130:131], v[156:157], s[20:21]
	v_mul_f64 v[106:107], v[156:157], s[22:23]
	v_add_f64 v[62:63], v[62:63], v[128:129]
	v_add_f64 v[58:59], v[58:59], v[122:123]
	v_mul_f64 v[122:123], v[156:157], s[30:31]
	v_mul_f64 v[128:129], v[158:159], s[20:21]
	v_fma_f64 v[120:121], v[152:153], s[4:5], v[120:121]
	v_add_f64 v[116:117], v[116:117], v[138:139]
	v_fma_f64 v[126:127], v[154:155], s[12:13], v[130:131]
	v_fma_f64 v[110:111], v[154:155], s[16:17], v[106:107]
	v_fma_f64 v[106:107], v[154:155], s[16:17], -v[106:107]
	v_fma_f64 v[130:131], v[154:155], s[12:13], -v[130:131]
	v_fma_f64 v[118:119], v[154:155], s[4:5], v[122:123]
	v_fma_f64 v[122:123], v[154:155], s[4:5], -v[122:123]
	v_fma_f64 v[124:125], v[152:153], s[12:13], -v[128:129]
	v_add_f64 v[120:121], v[120:121], v[134:135]
	v_add_f64 v[126:127], v[126:127], v[146:147]
	v_add_f64 v[146:147], v[6:7], -v[42:43]
	v_add_f64 v[106:107], v[106:107], v[132:133]
	v_add_f64 v[110:111], v[110:111], v[136:137]
	v_add_f64 v[118:119], v[118:119], v[142:143]
	v_add_f64 v[122:123], v[122:123], v[140:141]
	v_add_f64 v[124:125], v[124:125], v[144:145]
	v_add_f64 v[140:141], v[4:5], v[40:41]
	v_add_f64 v[144:145], v[4:5], -v[40:41]
	v_mul_f64 v[132:133], v[146:147], s[24:25]
	v_add_f64 v[142:143], v[6:7], v[42:43]
	v_fma_f64 v[128:129], v[152:153], s[12:13], v[128:129]
	v_add_f64 v[130:131], v[130:131], v[150:151]
	v_mul_f64 v[134:135], v[144:145], s[24:25]
	v_fma_f64 v[136:137], v[140:141], s[0:1], v[132:133]
	v_mul_f64 v[138:139], v[144:145], s[34:35]
	v_add_f64 v[128:129], v[128:129], v[148:149]
	v_add_f64 v[152:153], v[0:1], v[136:137]
	v_fma_f64 v[136:137], v[142:143], s[0:1], -v[134:135]
	v_add_f64 v[154:155], v[2:3], v[136:137]
	v_mul_f64 v[136:137], v[146:147], s[34:35]
	v_fma_f64 v[148:149], v[140:141], s[4:5], v[136:137]
	v_add_f64 v[156:157], v[0:1], v[148:149]
	v_fma_f64 v[148:149], v[142:143], s[4:5], -v[138:139]
	v_add_f64 v[158:159], v[2:3], v[148:149]
	v_mul_f64 v[148:149], v[146:147], s[20:21]
	v_fma_f64 v[150:151], v[140:141], s[12:13], -v[148:149]
	v_fma_f64 v[148:149], v[140:141], s[12:13], v[148:149]
	v_add_f64 v[160:161], v[0:1], v[150:151]
	v_mul_f64 v[150:151], v[144:145], s[20:21]
	v_add_f64 v[164:165], v[0:1], v[148:149]
	v_fma_f64 v[148:149], v[142:143], s[12:13], -v[150:151]
	v_fma_f64 v[162:163], v[142:143], s[12:13], v[150:151]
	v_add_f64 v[166:167], v[2:3], v[148:149]
	v_mul_f64 v[148:149], v[146:147], s[22:23]
	v_mul_f64 v[146:147], v[146:147], s[26:27]
	v_add_f64 v[162:163], v[2:3], v[162:163]
	v_fma_f64 v[150:151], v[140:141], s[16:17], -v[148:149]
	v_fma_f64 v[148:149], v[140:141], s[16:17], v[148:149]
	v_add_f64 v[168:169], v[0:1], v[150:151]
	v_mul_f64 v[150:151], v[144:145], s[22:23]
	v_add_f64 v[172:173], v[0:1], v[148:149]
	v_mul_f64 v[144:145], v[144:145], s[26:27]
	v_fma_f64 v[148:149], v[142:143], s[16:17], -v[150:151]
	v_fma_f64 v[170:171], v[142:143], s[16:17], v[150:151]
	v_mul_f64 v[150:151], v[184:185], s[34:35]
	v_add_f64 v[174:175], v[2:3], v[148:149]
	v_fma_f64 v[148:149], v[140:141], s[18:19], -v[146:147]
	v_fma_f64 v[146:147], v[140:141], s[18:19], v[146:147]
	v_add_f64 v[170:171], v[2:3], v[170:171]
	v_add_f64 v[176:177], v[0:1], v[148:149]
	v_fma_f64 v[148:149], v[142:143], s[18:19], v[144:145]
	v_fma_f64 v[144:145], v[142:143], s[18:19], -v[144:145]
	v_add_f64 v[180:181], v[0:1], v[146:147]
	v_add_f64 v[146:147], v[10:11], v[38:39]
	;; [unrolled: 1-line block ×5, first 2 shown]
	v_mul_f64 v[148:149], v[186:187], s[34:35]
	v_fma_f64 v[188:189], v[144:145], s[4:5], v[148:149]
	v_add_f64 v[188:189], v[188:189], v[152:153]
	v_fma_f64 v[152:153], v[146:147], s[4:5], -v[150:151]
	v_add_f64 v[190:191], v[152:153], v[154:155]
	v_mul_f64 v[152:153], v[186:187], s[22:23]
	v_mul_f64 v[154:155], v[184:185], s[22:23]
	v_fma_f64 v[196:197], v[144:145], s[16:17], v[152:153]
	v_add_f64 v[196:197], v[196:197], v[156:157]
	v_fma_f64 v[156:157], v[146:147], s[16:17], -v[154:155]
	v_add_f64 v[198:199], v[156:157], v[158:159]
	v_mul_f64 v[156:157], v[186:187], s[38:39]
	v_fma_f64 v[158:159], v[144:145], s[18:19], -v[156:157]
	v_fma_f64 v[156:157], v[144:145], s[18:19], v[156:157]
	v_add_f64 v[200:201], v[158:159], v[160:161]
	v_mul_f64 v[158:159], v[184:185], s[38:39]
	v_add_f64 v[204:205], v[156:157], v[164:165]
	v_fma_f64 v[156:157], v[146:147], s[18:19], -v[158:159]
	v_fma_f64 v[160:161], v[146:147], s[18:19], v[158:159]
	v_add_f64 v[206:207], v[156:157], v[166:167]
	v_mul_f64 v[156:157], v[186:187], s[36:37]
	v_add_f64 v[202:203], v[160:161], v[162:163]
	;; [unrolled: 5-line block ×4, first 2 shown]
	v_add_f64 v[186:187], v[14:15], -v[34:35]
	v_fma_f64 v[158:159], v[144:145], s[0:1], -v[156:157]
	v_fma_f64 v[156:157], v[144:145], s[0:1], v[156:157]
	v_add_f64 v[176:177], v[158:159], v[176:177]
	v_mul_f64 v[158:159], v[184:185], s[28:29]
	v_add_f64 v[180:181], v[156:157], v[180:181]
	v_add_f64 v[184:185], v[12:13], -v[32:33]
	v_fma_f64 v[160:161], v[146:147], s[0:1], v[158:159]
	v_fma_f64 v[156:157], v[146:147], s[0:1], -v[158:159]
	v_add_f64 v[158:159], v[14:15], v[34:35]
	v_mul_f64 v[162:163], v[184:185], s[20:21]
	v_mul_f64 v[166:167], v[184:185], s[38:39]
	v_add_f64 v[178:179], v[160:161], v[178:179]
	v_add_f64 v[182:183], v[156:157], v[182:183]
	;; [unrolled: 1-line block ×3, first 2 shown]
	v_mul_f64 v[160:161], v[186:187], s[20:21]
	v_fma_f64 v[164:165], v[156:157], s[12:13], v[160:161]
	v_add_f64 v[188:189], v[164:165], v[188:189]
	v_fma_f64 v[164:165], v[158:159], s[12:13], -v[162:163]
	v_add_f64 v[190:191], v[164:165], v[190:191]
	v_mul_f64 v[164:165], v[186:187], s[38:39]
	v_fma_f64 v[208:209], v[156:157], s[18:19], v[164:165]
	v_add_f64 v[196:197], v[208:209], v[196:197]
	v_fma_f64 v[208:209], v[158:159], s[18:19], -v[166:167]
	v_add_f64 v[198:199], v[208:209], v[198:199]
	v_mul_f64 v[208:209], v[186:187], s[30:31]
	v_fma_f64 v[210:211], v[156:157], s[4:5], -v[208:209]
	v_fma_f64 v[208:209], v[156:157], s[4:5], v[208:209]
	v_add_f64 v[200:201], v[210:211], v[200:201]
	v_mul_f64 v[210:211], v[184:185], s[30:31]
	v_add_f64 v[204:205], v[208:209], v[204:205]
	v_fma_f64 v[208:209], v[158:159], s[4:5], -v[210:211]
	v_fma_f64 v[212:213], v[158:159], s[4:5], v[210:211]
	v_add_f64 v[206:207], v[208:209], v[206:207]
	v_mul_f64 v[208:209], v[186:187], s[24:25]
	v_add_f64 v[202:203], v[212:213], v[202:203]
	v_fma_f64 v[210:211], v[156:157], s[0:1], -v[208:209]
	v_add_f64 v[210:211], v[210:211], v[168:169]
	v_mul_f64 v[168:169], v[184:185], s[24:25]
	v_fma_f64 v[212:213], v[158:159], s[0:1], v[168:169]
	v_fma_f64 v[168:169], v[158:159], s[0:1], -v[168:169]
	v_add_f64 v[212:213], v[212:213], v[170:171]
	v_fma_f64 v[170:171], v[156:157], s[0:1], v[208:209]
	v_add_f64 v[214:215], v[168:169], v[174:175]
	v_mul_f64 v[168:169], v[186:187], s[22:23]
	v_mul_f64 v[174:175], v[216:217], s[22:23]
	v_add_f64 v[208:209], v[170:171], v[172:173]
	v_fma_f64 v[170:171], v[156:157], s[16:17], -v[168:169]
	v_fma_f64 v[168:169], v[156:157], s[16:17], v[168:169]
	v_add_f64 v[186:187], v[170:171], v[176:177]
	v_mul_f64 v[170:171], v[184:185], s[22:23]
	v_add_f64 v[180:181], v[168:169], v[180:181]
	v_fma_f64 v[172:173], v[158:159], s[16:17], v[170:171]
	v_fma_f64 v[168:169], v[158:159], s[16:17], -v[170:171]
	v_add_f64 v[170:171], v[18:19], v[30:31]
	v_add_f64 v[184:185], v[172:173], v[178:179]
	;; [unrolled: 1-line block ×4, first 2 shown]
	v_mul_f64 v[172:173], v[218:219], s[22:23]
	v_mul_f64 v[178:179], v[216:217], s[36:37]
	v_fma_f64 v[176:177], v[168:169], s[16:17], v[172:173]
	v_add_f64 v[188:189], v[176:177], v[188:189]
	v_fma_f64 v[176:177], v[170:171], s[16:17], -v[174:175]
	v_add_f64 v[190:191], v[176:177], v[190:191]
	v_mul_f64 v[176:177], v[218:219], s[36:37]
	v_fma_f64 v[220:221], v[168:169], s[12:13], v[176:177]
	v_add_f64 v[196:197], v[220:221], v[196:197]
	v_fma_f64 v[220:221], v[170:171], s[12:13], -v[178:179]
	v_add_f64 v[198:199], v[220:221], v[198:199]
	v_mul_f64 v[220:221], v[218:219], s[24:25]
	v_fma_f64 v[224:225], v[168:169], s[0:1], -v[220:221]
	v_fma_f64 v[220:221], v[168:169], s[0:1], v[220:221]
	v_add_f64 v[200:201], v[224:225], v[200:201]
	v_mul_f64 v[224:225], v[216:217], s[24:25]
	v_add_f64 v[204:205], v[220:221], v[204:205]
	v_fma_f64 v[220:221], v[170:171], s[0:1], -v[224:225]
	v_fma_f64 v[226:227], v[170:171], s[0:1], v[224:225]
	v_add_f64 v[206:207], v[220:221], v[206:207]
	v_mul_f64 v[220:221], v[218:219], s[26:27]
	v_mul_f64 v[218:219], v[218:219], s[30:31]
	v_add_f64 v[202:203], v[226:227], v[202:203]
	v_fma_f64 v[224:225], v[168:169], s[18:19], -v[220:221]
	v_fma_f64 v[220:221], v[168:169], s[18:19], v[220:221]
	v_add_f64 v[210:211], v[224:225], v[210:211]
	v_mul_f64 v[224:225], v[216:217], s[26:27]
	v_add_f64 v[208:209], v[220:221], v[208:209]
	v_fma_f64 v[220:221], v[170:171], s[18:19], -v[224:225]
	v_fma_f64 v[226:227], v[170:171], s[18:19], v[224:225]
	v_add_f64 v[214:215], v[220:221], v[214:215]
	v_fma_f64 v[220:221], v[168:169], s[4:5], -v[218:219]
	v_add_f64 v[212:213], v[226:227], v[212:213]
	v_add_f64 v[226:227], v[20:21], -v[24:25]
	v_add_f64 v[220:221], v[220:221], v[186:187]
	v_mul_f64 v[186:187], v[216:217], s[30:31]
	v_fma_f64 v[216:217], v[170:171], s[4:5], v[186:187]
	v_add_f64 v[216:217], v[216:217], v[184:185]
	v_fma_f64 v[184:185], v[168:169], s[4:5], v[218:219]
	v_add_f64 v[218:219], v[184:185], v[180:181]
	v_fma_f64 v[180:181], v[170:171], s[4:5], -v[186:187]
	v_mul_f64 v[184:185], v[228:229], s[26:27]
	v_mul_f64 v[186:187], v[226:227], s[26:27]
	v_add_f64 v[224:225], v[180:181], v[182:183]
	v_add_f64 v[180:181], v[20:21], v[24:25]
	;; [unrolled: 1-line block ×3, first 2 shown]
	v_fma_f64 v[230:231], v[180:181], s[18:19], v[184:185]
	v_add_f64 v[230:231], v[230:231], v[188:189]
	v_fma_f64 v[188:189], v[182:183], s[18:19], -v[186:187]
	v_add_f64 v[232:233], v[188:189], v[190:191]
	v_mul_f64 v[188:189], v[228:229], s[28:29]
	buffer_store_dword v230, off, s[40:43], 0 ; 4-byte Folded Spill
	s_nop 0
	buffer_store_dword v231, off, s[40:43], 0 offset:4 ; 4-byte Folded Spill
	buffer_store_dword v232, off, s[40:43], 0 offset:8 ; 4-byte Folded Spill
	;; [unrolled: 1-line block ×3, first 2 shown]
	v_mul_f64 v[190:191], v[226:227], s[28:29]
	v_fma_f64 v[230:231], v[180:181], s[0:1], v[188:189]
	v_add_f64 v[230:231], v[230:231], v[196:197]
	v_fma_f64 v[196:197], v[182:183], s[0:1], -v[190:191]
	v_add_f64 v[232:233], v[196:197], v[198:199]
	v_mul_f64 v[196:197], v[228:229], s[22:23]
	buffer_store_dword v230, off, s[40:43], 0 offset:32 ; 4-byte Folded Spill
	s_nop 0
	buffer_store_dword v231, off, s[40:43], 0 offset:36 ; 4-byte Folded Spill
	buffer_store_dword v232, off, s[40:43], 0 offset:40 ; 4-byte Folded Spill
	buffer_store_dword v233, off, s[40:43], 0 offset:44 ; 4-byte Folded Spill
	v_fma_f64 v[198:199], v[180:181], s[16:17], -v[196:197]
	v_fma_f64 v[196:197], v[180:181], s[16:17], v[196:197]
	v_add_f64 v[230:231], v[198:199], v[200:201]
	v_mul_f64 v[198:199], v[226:227], s[22:23]
	v_fma_f64 v[200:201], v[182:183], s[16:17], v[198:199]
	v_add_f64 v[232:233], v[200:201], v[202:203]
	v_add_f64 v[200:201], v[196:197], v[204:205]
	v_fma_f64 v[196:197], v[182:183], s[16:17], -v[198:199]
	buffer_store_dword v230, off, s[40:43], 0 offset:16 ; 4-byte Folded Spill
	s_nop 0
	buffer_store_dword v231, off, s[40:43], 0 offset:20 ; 4-byte Folded Spill
	buffer_store_dword v232, off, s[40:43], 0 offset:24 ; 4-byte Folded Spill
	buffer_store_dword v233, off, s[40:43], 0 offset:28 ; 4-byte Folded Spill
	v_add_f64 v[202:203], v[196:197], v[206:207]
	v_mul_f64 v[196:197], v[228:229], s[30:31]
	buffer_store_dword v200, off, s[40:43], 0 offset:64 ; 4-byte Folded Spill
	s_nop 0
	buffer_store_dword v201, off, s[40:43], 0 offset:68 ; 4-byte Folded Spill
	buffer_store_dword v202, off, s[40:43], 0 offset:72 ; 4-byte Folded Spill
	buffer_store_dword v203, off, s[40:43], 0 offset:76 ; 4-byte Folded Spill
	v_fma_f64 v[198:199], v[180:181], s[4:5], -v[196:197]
	v_fma_f64 v[196:197], v[180:181], s[4:5], v[196:197]
	v_add_f64 v[202:203], v[198:199], v[210:211]
	v_mul_f64 v[198:199], v[226:227], s[30:31]
	v_fma_f64 v[200:201], v[182:183], s[4:5], v[198:199]
	v_add_f64 v[204:205], v[200:201], v[212:213]
	v_add_f64 v[200:201], v[196:197], v[208:209]
	v_fma_f64 v[196:197], v[182:183], s[4:5], -v[198:199]
	buffer_store_dword v202, off, s[40:43], 0 offset:48 ; 4-byte Folded Spill
	s_nop 0
	buffer_store_dword v203, off, s[40:43], 0 offset:52 ; 4-byte Folded Spill
	buffer_store_dword v204, off, s[40:43], 0 offset:56 ; 4-byte Folded Spill
	buffer_store_dword v205, off, s[40:43], 0 offset:60 ; 4-byte Folded Spill
	;; [unrolled: 20-line block ×3, first 2 shown]
	v_add_f64 v[202:203], v[196:197], v[224:225]
	v_mul_lo_u16_e32 v196, 11, v254
	v_lshlrev_b32_e32 v222, 4, v196
	buffer_store_dword v200, off, s[40:43], 0 offset:112 ; 4-byte Folded Spill
	s_nop 0
	buffer_store_dword v201, off, s[40:43], 0 offset:116 ; 4-byte Folded Spill
	buffer_store_dword v202, off, s[40:43], 0 offset:120 ; 4-byte Folded Spill
	buffer_store_dword v203, off, s[40:43], 0 offset:124 ; 4-byte Folded Spill
	s_waitcnt lgkmcnt(0)
	; wave barrier
	s_waitcnt vmcnt(63) expcnt(7) lgkmcnt(15)
	ds_write_b128 v222, v[44:47]
	ds_write_b128 v222, v[68:71] offset:16
	ds_write_b128 v222, v[84:87] offset:32
	;; [unrolled: 1-line block ×10, first 2 shown]
	v_mul_u32_u24_e32 v44, 11, v195
	v_lshlrev_b32_e32 v224, 4, v44
	v_mul_u32_u24_e32 v44, 11, v194
	ds_write_b128 v224, v[112:115]
	ds_write_b128 v224, v[52:55] offset:16
	ds_write_b128 v224, v[60:63] offset:32
	ds_write_b128 v224, v[108:111] offset:48
	ds_write_b128 v224, v[116:119] offset:64
	ds_write_b128 v224, v[124:127] offset:80
	ds_write_b128 v224, v[128:131] offset:96
	ds_write_b128 v224, v[120:123] offset:112
	ds_write_b128 v224, v[104:107] offset:128
	ds_write_b128 v224, v[56:59] offset:144
	ds_write_b128 v224, v[48:51] offset:160
	buffer_store_dword v44, off, s[40:43], 0 offset:972 ; 4-byte Folded Spill
	s_and_saveexec_b64 s[20:21], vcc
	s_cbranch_execz .LBB0_7
; %bb.6:
	v_add_f64 v[6:7], v[2:3], v[6:7]
	v_add_f64 v[4:5], v[0:1], v[4:5]
	v_mul_f64 v[44:45], v[142:143], s[4:5]
	v_mul_f64 v[46:47], v[140:141], s[0:1]
	;; [unrolled: 1-line block ×6, first 2 shown]
	v_add_f64 v[6:7], v[6:7], v[10:11]
	v_add_f64 v[4:5], v[4:5], v[8:9]
	;; [unrolled: 1-line block ×3, first 2 shown]
	v_mul_f64 v[56:57], v[146:147], s[4:5]
	v_add_f64 v[48:49], v[134:135], v[48:49]
	v_add_f64 v[46:47], v[46:47], -v[132:133]
	v_mul_f64 v[58:59], v[144:145], s[16:17]
	v_mul_f64 v[62:63], v[158:159], s[18:19]
	v_add_f64 v[6:7], v[6:7], v[14:15]
	v_add_f64 v[4:5], v[4:5], v[12:13]
	v_add_f64 v[54:55], v[154:155], v[54:55]
	v_add_f64 v[8:9], v[2:3], v[44:45]
	v_mul_f64 v[60:61], v[156:157], s[12:13]
	v_mul_f64 v[10:11], v[158:159], s[12:13]
	v_add_f64 v[2:3], v[2:3], v[48:49]
	v_add_f64 v[48:49], v[52:53], -v[148:149]
	v_add_f64 v[6:7], v[6:7], v[18:19]
	v_add_f64 v[4:5], v[4:5], v[16:17]
	v_mul_f64 v[44:45], v[156:157], s[18:19]
	v_mul_f64 v[66:67], v[170:171], s[12:13]
	v_add_f64 v[62:63], v[166:167], v[62:63]
	v_add_f64 v[8:9], v[54:55], v[8:9]
	v_mul_f64 v[64:65], v[168:169], s[16:17]
	v_mul_f64 v[12:13], v[170:171], s[16:17]
	v_add_f64 v[6:7], v[6:7], v[22:23]
	v_add_f64 v[4:5], v[4:5], v[20:21]
	v_add_f64 v[20:21], v[50:51], -v[136:137]
	v_add_f64 v[50:51], v[150:151], v[56:57]
	v_add_f64 v[22:23], v[58:59], -v[152:153]
	v_add_f64 v[10:11], v[162:163], v[10:11]
	v_mul_f64 v[14:15], v[168:169], s[12:13]
	v_mul_f64 v[54:55], v[182:183], s[0:1]
	v_add_f64 v[6:7], v[6:7], v[26:27]
	v_add_f64 v[4:5], v[4:5], v[24:25]
	;; [unrolled: 1-line block ×5, first 2 shown]
	v_add_f64 v[26:27], v[60:61], -v[160:161]
	v_add_f64 v[20:21], v[44:45], -v[164:165]
	v_add_f64 v[66:67], v[178:179], v[66:67]
	v_add_f64 v[6:7], v[6:7], v[30:31]
	;; [unrolled: 1-line block ×6, first 2 shown]
	v_mul_f64 v[68:69], v[180:181], s[18:19]
	v_mul_f64 v[16:17], v[182:183], s[18:19]
	v_add_f64 v[12:13], v[174:175], v[12:13]
	v_add_f64 v[6:7], v[6:7], v[34:35]
	v_add_f64 v[4:5], v[4:5], v[32:33]
	v_add_f64 v[2:3], v[10:11], v[2:3]
	v_add_f64 v[10:11], v[64:65], -v[172:173]
	v_add_f64 v[22:23], v[26:27], v[24:25]
	v_mul_f64 v[18:19], v[180:181], s[0:1]
	v_add_f64 v[14:15], v[14:15], -v[176:177]
	v_add_f64 v[0:1], v[20:21], v[0:1]
	v_add_f64 v[54:55], v[190:191], v[54:55]
	;; [unrolled: 1-line block ×7, first 2 shown]
	v_add_f64 v[20:21], v[68:69], -v[184:185]
	v_add_f64 v[22:23], v[10:11], v[22:23]
	v_add_f64 v[18:19], v[18:19], -v[188:189]
	v_add_f64 v[0:1], v[14:15], v[0:1]
	v_add_f64 v[2:3], v[54:55], v[8:9]
	;; [unrolled: 1-line block ×5, first 2 shown]
	v_mul_u32_u24_e32 v12, 11, v194
	v_add_f64 v[4:5], v[20:21], v[22:23]
	v_lshlrev_b32_e32 v12, 4, v12
	v_add_f64 v[0:1], v[18:19], v[0:1]
	ds_write_b128 v12, v[8:11]
	ds_write_b128 v12, v[4:7] offset:16
	ds_write_b128 v12, v[0:3] offset:32
	buffer_load_dword v0, off, s[40:43], 0 offset:16 ; 4-byte Folded Reload
	buffer_load_dword v1, off, s[40:43], 0 offset:20 ; 4-byte Folded Reload
	buffer_load_dword v2, off, s[40:43], 0 offset:24 ; 4-byte Folded Reload
	buffer_load_dword v3, off, s[40:43], 0 offset:28 ; 4-byte Folded Reload
	s_waitcnt vmcnt(0)
	ds_write_b128 v12, v[0:3] offset:48
	buffer_load_dword v0, off, s[40:43], 0 offset:48 ; 4-byte Folded Reload
	buffer_load_dword v1, off, s[40:43], 0 offset:52 ; 4-byte Folded Reload
	buffer_load_dword v2, off, s[40:43], 0 offset:56 ; 4-byte Folded Reload
	buffer_load_dword v3, off, s[40:43], 0 offset:60 ; 4-byte Folded Reload
	s_waitcnt vmcnt(0)
	;; [unrolled: 6-line block ×7, first 2 shown]
	ds_write_b128 v12, v[0:3] offset:144
	buffer_load_dword v0, off, s[40:43], 0  ; 4-byte Folded Reload
	buffer_load_dword v1, off, s[40:43], 0 offset:4 ; 4-byte Folded Reload
	buffer_load_dword v2, off, s[40:43], 0 offset:8 ; 4-byte Folded Reload
	;; [unrolled: 1-line block ×3, first 2 shown]
	s_waitcnt vmcnt(0)
	ds_write_b128 v12, v[0:3] offset:160
.LBB0_7:
	s_or_b64 exec, exec, s[20:21]
	s_movk_i32 s0, 0xa5
	v_add_co_u32_e64 v166, s[0:1], s0, v254
	s_movk_i32 s0, 0xdc
	v_add_co_u32_e64 v180, s[0:1], s0, v254
	s_movk_i32 s0, 0x75
	v_mul_lo_u16_sdwa v100, v254, s0 dst_sel:DWORD dst_unused:UNUSED_PAD src0_sel:BYTE_0 src1_sel:DWORD
	v_sub_u16_sdwa v101, v254, v100 dst_sel:DWORD dst_unused:UNUSED_PAD src0_sel:DWORD src1_sel:BYTE_1
	v_lshrrev_b16_e32 v101, 1, v101
	v_and_b32_e32 v101, 0x7f, v101
	v_add_u16_sdwa v100, v101, v100 dst_sel:DWORD dst_unused:UNUSED_PAD src0_sel:DWORD src1_sel:BYTE_1
	v_lshrrev_b16_e32 v132, 3, v100
	v_mul_lo_u16_e32 v100, 11, v132
	v_sub_u16_e32 v100, v254, v100
	v_and_b32_e32 v133, 0xff, v100
	v_lshlrev_b32_e32 v100, 6, v133
	s_waitcnt lgkmcnt(0)
	; wave barrier
	s_waitcnt lgkmcnt(0)
	ds_read_b128 v[28:31], v223
	ds_read_b128 v[52:55], v223 offset:4400
	ds_read_b128 v[56:59], v223 offset:8800
	;; [unrolled: 1-line block ×24, first 2 shown]
	global_load_dwordx4 v[102:105], v100, s[2:3] offset:48
	global_load_dwordx4 v[106:109], v100, s[2:3] offset:32
	;; [unrolled: 1-line block ×3, first 2 shown]
	global_load_dwordx4 v[114:117], v100, s[2:3]
	s_mov_b32 s20, 0x134454ff
	s_mov_b32 s21, 0x3fee6f0e
	s_mov_b32 s19, 0xbfee6f0e
	s_mov_b32 s18, s20
	s_mov_b32 s16, 0x4755a5e
	s_mov_b32 s17, 0x3fe2cf23
	s_mov_b32 s23, 0xbfe2cf23
	s_mov_b32 s22, s16
	s_mov_b32 s12, 0x372fe950
	s_mov_b32 s13, 0x3fd3c6ef
	v_mov_b32_e32 v181, s3
	s_movk_i32 s24, 0x1080
	s_add_u32 s4, s6, 0x55f0
	s_addc_u32 s5, s7, 0
	s_waitcnt vmcnt(0) lgkmcnt(14)
	v_mul_f64 v[100:101], v[54:55], v[116:117]
	v_fma_f64 v[124:125], v[52:53], v[114:115], -v[100:101]
	v_mul_f64 v[52:53], v[52:53], v[116:117]
	buffer_store_dword v114, off, s[40:43], 0 offset:528 ; 4-byte Folded Spill
	s_nop 0
	buffer_store_dword v115, off, s[40:43], 0 offset:532 ; 4-byte Folded Spill
	buffer_store_dword v116, off, s[40:43], 0 offset:536 ; 4-byte Folded Spill
	buffer_store_dword v117, off, s[40:43], 0 offset:540 ; 4-byte Folded Spill
	v_fma_f64 v[116:117], v[54:55], v[114:115], v[52:53]
	v_mul_f64 v[52:53], v[58:59], v[112:113]
	v_fma_f64 v[126:127], v[56:57], v[110:111], -v[52:53]
	v_mul_f64 v[52:53], v[56:57], v[112:113]
	buffer_store_dword v110, off, s[40:43], 0 offset:512 ; 4-byte Folded Spill
	s_nop 0
	buffer_store_dword v111, off, s[40:43], 0 offset:516 ; 4-byte Folded Spill
	buffer_store_dword v112, off, s[40:43], 0 offset:520 ; 4-byte Folded Spill
	buffer_store_dword v113, off, s[40:43], 0 offset:524 ; 4-byte Folded Spill
	v_fma_f64 v[118:119], v[58:59], v[110:111], v[52:53]
	;; [unrolled: 9-line block ×4, first 2 shown]
	v_mul_lo_u16_sdwa v52, v195, s0 dst_sel:DWORD dst_unused:UNUSED_PAD src0_sel:BYTE_0 src1_sel:DWORD
	v_sub_u16_sdwa v53, v195, v52 dst_sel:DWORD dst_unused:UNUSED_PAD src0_sel:DWORD src1_sel:BYTE_1
	v_lshrrev_b16_e32 v53, 1, v53
	v_and_b32_e32 v53, 0x7f, v53
	v_add_u16_sdwa v52, v53, v52 dst_sel:DWORD dst_unused:UNUSED_PAD src0_sel:DWORD src1_sel:BYTE_1
	v_lshrrev_b16_e32 v134, 3, v52
	v_mul_lo_u16_e32 v52, 11, v134
	v_sub_u16_e32 v52, v195, v52
	v_and_b32_e32 v135, 0xff, v52
	v_lshlrev_b32_e32 v52, 6, v135
	global_load_dwordx4 v[60:63], v52, s[2:3] offset:48
	global_load_dwordx4 v[100:103], v52, s[2:3] offset:32
	;; [unrolled: 1-line block ×3, first 2 shown]
	global_load_dwordx4 v[104:107], v52, s[2:3]
	s_waitcnt vmcnt(1)
	v_mul_f64 v[54:55], v[74:75], v[58:59]
	s_waitcnt vmcnt(0)
	v_mul_f64 v[52:53], v[70:71], v[106:107]
	v_fma_f64 v[110:111], v[72:73], v[56:57], -v[54:55]
	v_fma_f64 v[64:65], v[68:69], v[104:105], -v[52:53]
	v_mul_f64 v[52:53], v[68:69], v[106:107]
	buffer_store_dword v104, off, s[40:43], 0 offset:592 ; 4-byte Folded Spill
	s_nop 0
	buffer_store_dword v105, off, s[40:43], 0 offset:596 ; 4-byte Folded Spill
	buffer_store_dword v106, off, s[40:43], 0 offset:600 ; 4-byte Folded Spill
	;; [unrolled: 1-line block ×3, first 2 shown]
	v_mul_f64 v[54:55], v[72:73], v[58:59]
	buffer_store_dword v56, off, s[40:43], 0 offset:576 ; 4-byte Folded Spill
	s_nop 0
	buffer_store_dword v57, off, s[40:43], 0 offset:580 ; 4-byte Folded Spill
	buffer_store_dword v58, off, s[40:43], 0 offset:584 ; 4-byte Folded Spill
	;; [unrolled: 1-line block ×3, first 2 shown]
	v_mul_f64 v[58:59], v[82:83], v[62:63]
	v_fma_f64 v[114:115], v[80:81], v[60:61], -v[58:59]
	v_mul_f64 v[58:59], v[80:81], v[62:63]
	v_fma_f64 v[52:53], v[70:71], v[104:105], v[52:53]
	v_fma_f64 v[54:55], v[74:75], v[56:57], v[54:55]
	v_mul_f64 v[56:57], v[78:79], v[102:103]
	v_fma_f64 v[112:113], v[76:77], v[100:101], -v[56:57]
	v_mul_f64 v[56:57], v[76:77], v[102:103]
	buffer_store_dword v100, off, s[40:43], 0 offset:560 ; 4-byte Folded Spill
	s_nop 0
	buffer_store_dword v101, off, s[40:43], 0 offset:564 ; 4-byte Folded Spill
	buffer_store_dword v102, off, s[40:43], 0 offset:568 ; 4-byte Folded Spill
	;; [unrolled: 1-line block ×4, first 2 shown]
	s_nop 0
	buffer_store_dword v61, off, s[40:43], 0 offset:548 ; 4-byte Folded Spill
	buffer_store_dword v62, off, s[40:43], 0 offset:552 ; 4-byte Folded Spill
	;; [unrolled: 1-line block ×3, first 2 shown]
	v_fma_f64 v[56:57], v[78:79], v[100:101], v[56:57]
	v_fma_f64 v[60:61], v[82:83], v[60:61], v[58:59]
	v_mul_lo_u16_sdwa v58, v194, s0 dst_sel:DWORD dst_unused:UNUSED_PAD src0_sel:BYTE_0 src1_sel:DWORD
	v_sub_u16_sdwa v59, v194, v58 dst_sel:DWORD dst_unused:UNUSED_PAD src0_sel:DWORD src1_sel:BYTE_1
	v_lshrrev_b16_e32 v59, 1, v59
	v_and_b32_e32 v59, 0x7f, v59
	v_add_u16_sdwa v58, v59, v58 dst_sel:DWORD dst_unused:UNUSED_PAD src0_sel:DWORD src1_sel:BYTE_1
	v_lshrrev_b16_e32 v136, 3, v58
	v_mul_lo_u16_e32 v58, 11, v136
	v_sub_u16_e32 v58, v194, v58
	v_and_b32_e32 v137, 0xff, v58
	v_lshlrev_b32_e32 v58, 6, v137
	global_load_dwordx4 v[100:103], v58, s[2:3] offset:48
	global_load_dwordx4 v[72:75], v58, s[2:3] offset:32
	;; [unrolled: 1-line block ×3, first 2 shown]
	global_load_dwordx4 v[66:69], v58, s[2:3]
	s_waitcnt vmcnt(2) lgkmcnt(11)
	v_mul_f64 v[70:71], v[94:95], v[74:75]
	s_waitcnt vmcnt(0)
	v_mul_f64 v[58:59], v[86:87], v[68:69]
	v_mul_f64 v[62:63], v[84:85], v[68:69]
	v_fma_f64 v[58:59], v[84:85], v[66:67], -v[58:59]
	buffer_store_dword v66, off, s[40:43], 0 offset:656 ; 4-byte Folded Spill
	s_nop 0
	buffer_store_dword v67, off, s[40:43], 0 offset:660 ; 4-byte Folded Spill
	buffer_store_dword v68, off, s[40:43], 0 offset:664 ; 4-byte Folded Spill
	buffer_store_dword v69, off, s[40:43], 0 offset:668 ; 4-byte Folded Spill
	v_mul_f64 v[68:69], v[88:89], v[78:79]
	v_fma_f64 v[66:67], v[86:87], v[66:67], v[62:63]
	v_mul_f64 v[62:63], v[90:91], v[78:79]
	v_fma_f64 v[62:63], v[88:89], v[76:77], -v[62:63]
	buffer_store_dword v76, off, s[40:43], 0 offset:640 ; 4-byte Folded Spill
	s_nop 0
	buffer_store_dword v77, off, s[40:43], 0 offset:644 ; 4-byte Folded Spill
	buffer_store_dword v78, off, s[40:43], 0 offset:648 ; 4-byte Folded Spill
	;; [unrolled: 1-line block ×3, first 2 shown]
	v_fma_f64 v[68:69], v[90:91], v[76:77], v[68:69]
	v_fma_f64 v[76:77], v[92:93], v[72:73], -v[70:71]
	v_mul_f64 v[70:71], v[92:93], v[74:75]
	buffer_store_dword v72, off, s[40:43], 0 offset:624 ; 4-byte Folded Spill
	s_nop 0
	buffer_store_dword v73, off, s[40:43], 0 offset:628 ; 4-byte Folded Spill
	buffer_store_dword v74, off, s[40:43], 0 offset:632 ; 4-byte Folded Spill
	buffer_store_dword v75, off, s[40:43], 0 offset:636 ; 4-byte Folded Spill
	v_mul_lo_u16_sdwa v74, v166, s0 dst_sel:DWORD dst_unused:UNUSED_PAD src0_sel:BYTE_0 src1_sel:DWORD
	v_sub_u16_sdwa v75, v166, v74 dst_sel:DWORD dst_unused:UNUSED_PAD src0_sel:DWORD src1_sel:BYTE_1
	v_lshrrev_b16_e32 v75, 1, v75
	v_and_b32_e32 v75, 0x7f, v75
	v_add_u16_sdwa v74, v75, v74 dst_sel:DWORD dst_unused:UNUSED_PAD src0_sel:DWORD src1_sel:BYTE_1
	v_lshrrev_b16_e32 v138, 3, v74
	v_mul_lo_u16_e32 v74, 11, v138
	v_sub_u16_e32 v74, v166, v74
	v_and_b32_e32 v139, 0xff, v74
	v_lshlrev_b32_e32 v74, 6, v139
	s_mov_b32 s0, 0xba2f
	v_fma_f64 v[70:71], v[94:95], v[72:73], v[70:71]
	s_waitcnt lgkmcnt(10)
	v_mul_f64 v[72:73], v[98:99], v[102:103]
	v_fma_f64 v[80:81], v[96:97], v[100:101], -v[72:73]
	v_mul_f64 v[72:73], v[96:97], v[102:103]
	buffer_store_dword v100, off, s[40:43], 0 offset:608 ; 4-byte Folded Spill
	s_nop 0
	buffer_store_dword v101, off, s[40:43], 0 offset:612 ; 4-byte Folded Spill
	buffer_store_dword v102, off, s[40:43], 0 offset:616 ; 4-byte Folded Spill
	;; [unrolled: 1-line block ×3, first 2 shown]
	v_fma_f64 v[72:73], v[98:99], v[100:101], v[72:73]
	global_load_dwordx4 v[88:91], v74, s[2:3] offset:48
	global_load_dwordx4 v[92:95], v74, s[2:3] offset:32
	;; [unrolled: 1-line block ×3, first 2 shown]
	global_load_dwordx4 v[96:99], v74, s[2:3]
	s_waitcnt vmcnt(0) lgkmcnt(8)
	v_mul_f64 v[74:75], v[50:51], v[98:99]
	v_fma_f64 v[74:75], v[48:49], v[96:97], -v[74:75]
	v_mul_f64 v[48:49], v[48:49], v[98:99]
	buffer_store_dword v96, off, s[40:43], 0 offset:720 ; 4-byte Folded Spill
	s_nop 0
	buffer_store_dword v97, off, s[40:43], 0 offset:724 ; 4-byte Folded Spill
	buffer_store_dword v98, off, s[40:43], 0 offset:728 ; 4-byte Folded Spill
	;; [unrolled: 1-line block ×3, first 2 shown]
	v_fma_f64 v[82:83], v[50:51], v[96:97], v[48:49]
	s_waitcnt lgkmcnt(7)
	v_mul_f64 v[48:49], v[46:47], v[86:87]
	v_add_f64 v[50:51], v[112:113], -v[114:115]
	v_fma_f64 v[78:79], v[44:45], v[84:85], -v[48:49]
	v_mul_f64 v[44:45], v[44:45], v[86:87]
	buffer_store_dword v84, off, s[40:43], 0 offset:704 ; 4-byte Folded Spill
	s_nop 0
	buffer_store_dword v85, off, s[40:43], 0 offset:708 ; 4-byte Folded Spill
	buffer_store_dword v86, off, s[40:43], 0 offset:712 ; 4-byte Folded Spill
	;; [unrolled: 1-line block ×3, first 2 shown]
	v_fma_f64 v[84:85], v[46:47], v[84:85], v[44:45]
	s_waitcnt lgkmcnt(6)
	v_mul_f64 v[44:45], v[42:43], v[94:95]
	v_fma_f64 v[98:99], v[40:41], v[92:93], -v[44:45]
	v_mul_f64 v[40:41], v[40:41], v[94:95]
	buffer_store_dword v92, off, s[40:43], 0 offset:688 ; 4-byte Folded Spill
	s_nop 0
	buffer_store_dword v93, off, s[40:43], 0 offset:692 ; 4-byte Folded Spill
	buffer_store_dword v94, off, s[40:43], 0 offset:696 ; 4-byte Folded Spill
	;; [unrolled: 1-line block ×3, first 2 shown]
	v_fma_f64 v[86:87], v[42:43], v[92:93], v[40:41]
	s_waitcnt lgkmcnt(5)
	v_mul_f64 v[40:41], v[38:39], v[90:91]
	v_fma_f64 v[100:101], v[36:37], v[88:89], -v[40:41]
	v_mul_f64 v[36:37], v[36:37], v[90:91]
	buffer_store_dword v88, off, s[40:43], 0 offset:672 ; 4-byte Folded Spill
	s_nop 0
	buffer_store_dword v89, off, s[40:43], 0 offset:676 ; 4-byte Folded Spill
	buffer_store_dword v90, off, s[40:43], 0 offset:680 ; 4-byte Folded Spill
	;; [unrolled: 1-line block ×3, first 2 shown]
	v_fma_f64 v[88:89], v[38:39], v[88:89], v[36:37]
	v_mul_u32_u24_sdwa v36, v180, s0 dst_sel:DWORD dst_unused:UNUSED_PAD src0_sel:WORD_0 src1_sel:DWORD
	v_lshrrev_b32_e32 v140, 19, v36
	v_mul_lo_u16_e32 v36, 11, v140
	v_sub_u16_e32 v141, v180, v36
	v_lshlrev_b16_e32 v36, 2, v141
	v_lshlrev_b32_e32 v36, 4, v36
	global_load_dwordx4 v[38:41], v36, s[2:3] offset:48
	global_load_dwordx4 v[42:45], v36, s[2:3] offset:32
	;; [unrolled: 1-line block ×3, first 2 shown]
	global_load_dwordx4 v[90:93], v36, s[2:3]
	s_waitcnt vmcnt(0) lgkmcnt(3)
	v_mul_f64 v[36:37], v[34:35], v[92:93]
	v_fma_f64 v[102:103], v[32:33], v[90:91], -v[36:37]
	v_mul_f64 v[32:33], v[32:33], v[92:93]
	buffer_store_dword v90, off, s[40:43], 0 offset:784 ; 4-byte Folded Spill
	s_nop 0
	buffer_store_dword v91, off, s[40:43], 0 offset:788 ; 4-byte Folded Spill
	buffer_store_dword v92, off, s[40:43], 0 offset:792 ; 4-byte Folded Spill
	;; [unrolled: 1-line block ×3, first 2 shown]
	v_add_f64 v[36:37], v[124:125], -v[130:131]
	v_fma_f64 v[90:91], v[34:35], v[90:91], v[32:33]
	s_waitcnt lgkmcnt(2)
	v_mul_f64 v[32:33], v[26:27], v[48:49]
	v_add_f64 v[34:35], v[128:129], -v[130:131]
	v_fma_f64 v[104:105], v[24:25], v[46:47], -v[32:33]
	v_mul_f64 v[24:25], v[24:25], v[48:49]
	buffer_store_dword v46, off, s[40:43], 0 offset:768 ; 4-byte Folded Spill
	s_nop 0
	buffer_store_dword v47, off, s[40:43], 0 offset:772 ; 4-byte Folded Spill
	buffer_store_dword v48, off, s[40:43], 0 offset:776 ; 4-byte Folded Spill
	;; [unrolled: 1-line block ×3, first 2 shown]
	v_add_f64 v[32:33], v[130:131], -v[128:129]
	v_add_f64 v[48:49], v[114:115], -v[112:113]
	v_fma_f64 v[92:93], v[26:27], v[46:47], v[24:25]
	s_waitcnt lgkmcnt(1)
	v_mul_f64 v[24:25], v[22:23], v[44:45]
	v_add_f64 v[26:27], v[118:119], -v[120:121]
	v_add_f64 v[46:47], v[54:55], -v[56:57]
	v_fma_f64 v[106:107], v[20:21], v[42:43], -v[24:25]
	v_mul_f64 v[20:21], v[20:21], v[44:45]
	buffer_store_dword v42, off, s[40:43], 0 offset:752 ; 4-byte Folded Spill
	s_nop 0
	buffer_store_dword v43, off, s[40:43], 0 offset:756 ; 4-byte Folded Spill
	buffer_store_dword v44, off, s[40:43], 0 offset:760 ; 4-byte Folded Spill
	;; [unrolled: 1-line block ×3, first 2 shown]
	v_add_f64 v[24:25], v[124:125], -v[126:127]
	v_add_f64 v[44:45], v[64:65], -v[110:111]
	v_add_f64 v[32:33], v[24:25], v[32:33]
	v_add_f64 v[48:49], v[44:45], v[48:49]
	v_fma_f64 v[94:95], v[22:23], v[42:43], v[20:21]
	s_waitcnt lgkmcnt(0)
	v_mul_f64 v[20:21], v[18:19], v[40:41]
	v_add_f64 v[22:23], v[116:117], -v[122:123]
	v_add_f64 v[42:43], v[120:121], -v[122:123]
	v_fma_f64 v[108:109], v[16:17], v[38:39], -v[20:21]
	v_mul_f64 v[16:17], v[16:17], v[40:41]
	buffer_store_dword v38, off, s[40:43], 0 offset:736 ; 4-byte Folded Spill
	s_nop 0
	buffer_store_dword v39, off, s[40:43], 0 offset:740 ; 4-byte Folded Spill
	buffer_store_dword v40, off, s[40:43], 0 offset:744 ; 4-byte Folded Spill
	;; [unrolled: 1-line block ×3, first 2 shown]
	v_add_f64 v[40:41], v[122:123], -v[120:121]
	s_waitcnt lgkmcnt(0)
	; wave barrier
	v_fma_f64 v[96:97], v[18:19], v[38:39], v[16:17]
	v_add_f64 v[18:19], v[126:127], v[128:129]
	v_add_f64 v[16:17], v[28:29], v[124:125]
	v_add_f64 v[38:39], v[126:127], -v[128:129]
	v_fma_f64 v[18:19], v[18:19], -0.5, v[28:29]
	v_add_f64 v[16:17], v[16:17], v[126:127]
	v_fma_f64 v[20:21], v[22:23], s[20:21], v[18:19]
	v_fma_f64 v[18:19], v[22:23], s[18:19], v[18:19]
	v_add_f64 v[16:17], v[16:17], v[128:129]
	v_fma_f64 v[20:21], v[26:27], s[16:17], v[20:21]
	v_fma_f64 v[18:19], v[26:27], s[22:23], v[18:19]
	;; [unrolled: 3-line block ×3, first 2 shown]
	v_add_f64 v[18:19], v[124:125], v[130:131]
	v_add_f64 v[32:33], v[126:127], -v[124:125]
	v_fma_f64 v[18:19], v[18:19], -0.5, v[28:29]
	v_add_f64 v[34:35], v[32:33], v[34:35]
	v_fma_f64 v[28:29], v[26:27], s[18:19], v[18:19]
	v_fma_f64 v[18:19], v[26:27], s[20:21], v[18:19]
	;; [unrolled: 1-line block ×4, first 2 shown]
	v_add_f64 v[22:23], v[118:119], v[120:121]
	v_fma_f64 v[32:33], v[34:35], s[12:13], v[28:29]
	v_fma_f64 v[28:29], v[34:35], s[12:13], v[18:19]
	v_fma_f64 v[22:23], v[22:23], -0.5, v[30:31]
	v_add_f64 v[34:35], v[116:117], -v[118:119]
	v_add_f64 v[18:19], v[30:31], v[116:117]
	v_fma_f64 v[26:27], v[36:37], s[18:19], v[22:23]
	v_fma_f64 v[22:23], v[36:37], s[20:21], v[22:23]
	v_add_f64 v[34:35], v[34:35], v[40:41]
	v_add_f64 v[40:41], v[118:119], -v[116:117]
	v_add_f64 v[18:19], v[18:19], v[118:119]
	v_fma_f64 v[26:27], v[38:39], s[22:23], v[26:27]
	v_fma_f64 v[22:23], v[38:39], s[16:17], v[22:23]
	v_add_f64 v[40:41], v[40:41], v[42:43]
	;; [unrolled: 5-line block ×3, first 2 shown]
	v_add_f64 v[18:19], v[18:19], v[122:123]
	v_fma_f64 v[30:31], v[34:35], -0.5, v[30:31]
	v_fma_f64 v[34:35], v[38:39], s[20:21], v[30:31]
	v_fma_f64 v[30:31], v[38:39], s[18:19], v[30:31]
	v_add_f64 v[38:39], v[110:111], v[112:113]
	v_fma_f64 v[34:35], v[36:37], s[22:23], v[34:35]
	v_fma_f64 v[30:31], v[36:37], s[16:17], v[30:31]
	v_fma_f64 v[38:39], v[38:39], -0.5, v[12:13]
	v_add_f64 v[36:37], v[12:13], v[64:65]
	v_fma_f64 v[34:35], v[40:41], s[12:13], v[34:35]
	v_fma_f64 v[30:31], v[40:41], s[12:13], v[30:31]
	;; [unrolled: 1-line block ×4, first 2 shown]
	v_add_f64 v[36:37], v[36:37], v[110:111]
	v_fma_f64 v[40:41], v[46:47], s[16:17], v[40:41]
	v_fma_f64 v[38:39], v[46:47], s[22:23], v[38:39]
	v_add_f64 v[36:37], v[36:37], v[112:113]
	v_fma_f64 v[44:45], v[48:49], s[12:13], v[40:41]
	v_fma_f64 v[40:41], v[48:49], s[12:13], v[38:39]
	v_add_f64 v[38:39], v[64:65], v[114:115]
	v_add_f64 v[48:49], v[110:111], -v[64:65]
	v_add_f64 v[64:65], v[64:65], -v[114:115]
	;; [unrolled: 1-line block ×4, first 2 shown]
	v_add_f64 v[36:37], v[36:37], v[114:115]
	v_add_f64 v[114:115], v[76:77], -v[80:81]
	v_fma_f64 v[12:13], v[38:39], -0.5, v[12:13]
	v_add_f64 v[50:51], v[48:49], v[50:51]
	v_fma_f64 v[38:39], v[46:47], s[18:19], v[12:13]
	v_fma_f64 v[12:13], v[46:47], s[20:21], v[12:13]
	v_fma_f64 v[38:39], v[42:43], s[16:17], v[38:39]
	v_fma_f64 v[12:13], v[42:43], s[22:23], v[12:13]
	v_add_f64 v[42:43], v[54:55], v[56:57]
	v_fma_f64 v[48:49], v[50:51], s[12:13], v[38:39]
	v_fma_f64 v[12:13], v[50:51], s[12:13], v[12:13]
	v_fma_f64 v[42:43], v[42:43], -0.5, v[14:15]
	v_add_f64 v[50:51], v[52:53], -v[54:55]
	v_add_f64 v[38:39], v[14:15], v[52:53]
	v_fma_f64 v[46:47], v[64:65], s[18:19], v[42:43]
	v_fma_f64 v[42:43], v[64:65], s[20:21], v[42:43]
	v_add_f64 v[50:51], v[50:51], v[112:113]
	v_add_f64 v[38:39], v[38:39], v[54:55]
	v_add_f64 v[112:113], v[68:69], -v[70:71]
	v_fma_f64 v[46:47], v[110:111], s[22:23], v[46:47]
	v_fma_f64 v[42:43], v[110:111], s[16:17], v[42:43]
	v_add_f64 v[38:39], v[38:39], v[56:57]
	v_fma_f64 v[46:47], v[50:51], s[12:13], v[46:47]
	v_fma_f64 v[42:43], v[50:51], s[12:13], v[42:43]
	v_add_f64 v[50:51], v[52:53], v[60:61]
	v_add_f64 v[52:53], v[54:55], -v[52:53]
	v_add_f64 v[54:55], v[56:57], -v[60:61]
	v_add_f64 v[38:39], v[38:39], v[60:61]
	v_add_f64 v[60:61], v[58:59], -v[62:63]
	v_fma_f64 v[14:15], v[50:51], -0.5, v[14:15]
	v_add_f64 v[52:53], v[52:53], v[54:55]
	v_add_f64 v[54:55], v[62:63], v[76:77]
	v_fma_f64 v[50:51], v[110:111], s[20:21], v[14:15]
	v_fma_f64 v[14:15], v[110:111], s[18:19], v[14:15]
	v_add_f64 v[110:111], v[66:67], -v[72:73]
	v_fma_f64 v[54:55], v[54:55], -0.5, v[8:9]
	v_fma_f64 v[50:51], v[64:65], s[22:23], v[50:51]
	v_fma_f64 v[14:15], v[64:65], s[16:17], v[14:15]
	v_add_f64 v[64:65], v[80:81], -v[76:77]
	v_fma_f64 v[56:57], v[110:111], s[20:21], v[54:55]
	v_fma_f64 v[54:55], v[110:111], s[18:19], v[54:55]
	;; [unrolled: 1-line block ×4, first 2 shown]
	v_add_f64 v[64:65], v[60:61], v[64:65]
	v_fma_f64 v[56:57], v[112:113], s[16:17], v[56:57]
	v_fma_f64 v[54:55], v[112:113], s[22:23], v[54:55]
	v_add_f64 v[52:53], v[8:9], v[58:59]
	v_fma_f64 v[60:61], v[64:65], s[12:13], v[56:57]
	v_fma_f64 v[56:57], v[64:65], s[12:13], v[54:55]
	v_add_f64 v[54:55], v[58:59], v[80:81]
	v_add_f64 v[52:53], v[52:53], v[62:63]
	v_add_f64 v[64:65], v[62:63], -v[58:59]
	v_fma_f64 v[8:9], v[54:55], -0.5, v[8:9]
	v_add_f64 v[52:53], v[52:53], v[76:77]
	v_add_f64 v[76:77], v[62:63], -v[76:77]
	v_add_f64 v[62:63], v[66:67], -v[68:69]
	v_add_f64 v[114:115], v[64:65], v[114:115]
	v_fma_f64 v[54:55], v[112:113], s[18:19], v[8:9]
	v_fma_f64 v[8:9], v[112:113], s[20:21], v[8:9]
	v_add_f64 v[52:53], v[52:53], v[80:81]
	v_add_f64 v[80:81], v[58:59], -v[80:81]
	v_add_f64 v[112:113], v[72:73], -v[70:71]
	v_fma_f64 v[54:55], v[110:111], s[16:17], v[54:55]
	v_fma_f64 v[8:9], v[110:111], s[22:23], v[8:9]
	v_add_f64 v[110:111], v[68:69], v[70:71]
	v_add_f64 v[112:113], v[62:63], v[112:113]
	v_fma_f64 v[64:65], v[114:115], s[12:13], v[54:55]
	v_add_f64 v[54:55], v[10:11], v[66:67]
	v_fma_f64 v[110:111], v[110:111], -0.5, v[10:11]
	v_fma_f64 v[8:9], v[114:115], s[12:13], v[8:9]
	v_add_f64 v[114:115], v[98:99], -v[100:101]
	v_add_f64 v[54:55], v[54:55], v[68:69]
	v_fma_f64 v[58:59], v[80:81], s[18:19], v[110:111]
	v_add_f64 v[54:55], v[54:55], v[70:71]
	v_fma_f64 v[58:59], v[76:77], s[22:23], v[58:59]
	;; [unrolled: 2-line block ×3, first 2 shown]
	v_fma_f64 v[58:59], v[80:81], s[20:21], v[110:111]
	v_add_f64 v[110:111], v[66:67], v[72:73]
	v_add_f64 v[66:67], v[68:69], -v[66:67]
	v_add_f64 v[68:69], v[70:71], -v[72:73]
	v_add_f64 v[70:71], v[78:79], v[98:99]
	v_fma_f64 v[58:59], v[76:77], s[16:17], v[58:59]
	v_fma_f64 v[10:11], v[110:111], -0.5, v[10:11]
	v_add_f64 v[68:69], v[66:67], v[68:69]
	v_fma_f64 v[70:71], v[70:71], -0.5, v[4:5]
	v_fma_f64 v[58:59], v[112:113], s[12:13], v[58:59]
	v_fma_f64 v[110:111], v[76:77], s[20:21], v[10:11]
	;; [unrolled: 1-line block ×3, first 2 shown]
	v_add_f64 v[112:113], v[84:85], -v[86:87]
	v_add_f64 v[76:77], v[74:75], -v[78:79]
	v_fma_f64 v[110:111], v[80:81], s[22:23], v[110:111]
	v_fma_f64 v[10:11], v[80:81], s[16:17], v[10:11]
	v_add_f64 v[80:81], v[100:101], -v[98:99]
	v_fma_f64 v[66:67], v[68:69], s[12:13], v[110:111]
	v_add_f64 v[110:111], v[82:83], -v[88:89]
	v_add_f64 v[80:81], v[76:77], v[80:81]
	v_fma_f64 v[10:11], v[68:69], s[12:13], v[10:11]
	v_add_f64 v[68:69], v[4:5], v[74:75]
	v_fma_f64 v[72:73], v[110:111], s[20:21], v[70:71]
	v_fma_f64 v[70:71], v[110:111], s[18:19], v[70:71]
	v_add_f64 v[68:69], v[68:69], v[78:79]
	v_fma_f64 v[72:73], v[112:113], s[16:17], v[72:73]
	v_fma_f64 v[70:71], v[112:113], s[22:23], v[70:71]
	v_add_f64 v[68:69], v[68:69], v[98:99]
	v_add_f64 v[98:99], v[78:79], -v[98:99]
	v_fma_f64 v[76:77], v[80:81], s[12:13], v[72:73]
	v_fma_f64 v[72:73], v[80:81], s[12:13], v[70:71]
	v_add_f64 v[70:71], v[74:75], v[100:101]
	v_add_f64 v[68:69], v[68:69], v[100:101]
	v_add_f64 v[100:101], v[74:75], -v[100:101]
	v_add_f64 v[80:81], v[78:79], -v[74:75]
	;; [unrolled: 1-line block ×3, first 2 shown]
	v_fma_f64 v[4:5], v[70:71], -0.5, v[4:5]
	v_add_f64 v[114:115], v[80:81], v[114:115]
	v_fma_f64 v[70:71], v[112:113], s[18:19], v[4:5]
	v_fma_f64 v[4:5], v[112:113], s[20:21], v[4:5]
	v_add_f64 v[112:113], v[88:89], -v[86:87]
	v_fma_f64 v[70:71], v[110:111], s[16:17], v[70:71]
	v_fma_f64 v[4:5], v[110:111], s[22:23], v[4:5]
	v_add_f64 v[110:111], v[84:85], v[86:87]
	v_add_f64 v[112:113], v[78:79], v[112:113]
	v_fma_f64 v[80:81], v[114:115], s[12:13], v[70:71]
	v_add_f64 v[70:71], v[6:7], v[82:83]
	v_fma_f64 v[110:111], v[110:111], -0.5, v[6:7]
	v_fma_f64 v[4:5], v[114:115], s[12:13], v[4:5]
	v_add_f64 v[114:115], v[106:107], -v[108:109]
	v_add_f64 v[70:71], v[70:71], v[84:85]
	v_fma_f64 v[74:75], v[100:101], s[18:19], v[110:111]
	v_add_f64 v[70:71], v[70:71], v[86:87]
	v_fma_f64 v[74:75], v[98:99], s[22:23], v[74:75]
	;; [unrolled: 2-line block ×3, first 2 shown]
	v_fma_f64 v[74:75], v[100:101], s[20:21], v[110:111]
	v_add_f64 v[110:111], v[82:83], v[88:89]
	v_add_f64 v[82:83], v[84:85], -v[82:83]
	v_add_f64 v[84:85], v[86:87], -v[88:89]
	v_add_f64 v[86:87], v[104:105], v[106:107]
	v_add_f64 v[88:89], v[90:91], -v[96:97]
	v_fma_f64 v[74:75], v[98:99], s[16:17], v[74:75]
	v_fma_f64 v[6:7], v[110:111], -0.5, v[6:7]
	v_add_f64 v[84:85], v[82:83], v[84:85]
	v_fma_f64 v[86:87], v[86:87], -0.5, v[0:1]
	v_fma_f64 v[74:75], v[112:113], s[12:13], v[74:75]
	v_fma_f64 v[110:111], v[98:99], s[20:21], v[6:7]
	;; [unrolled: 1-line block ×3, first 2 shown]
	v_add_f64 v[112:113], v[108:109], -v[106:107]
	v_fma_f64 v[98:99], v[88:89], s[20:21], v[86:87]
	v_fma_f64 v[86:87], v[88:89], s[18:19], v[86:87]
	;; [unrolled: 1-line block ×4, first 2 shown]
	v_add_f64 v[100:101], v[92:93], -v[94:95]
	v_fma_f64 v[82:83], v[84:85], s[12:13], v[110:111]
	v_add_f64 v[110:111], v[102:103], -v[104:105]
	v_fma_f64 v[98:99], v[100:101], s[16:17], v[98:99]
	v_fma_f64 v[86:87], v[100:101], s[22:23], v[86:87]
	;; [unrolled: 1-line block ×3, first 2 shown]
	v_add_f64 v[84:85], v[0:1], v[102:103]
	v_add_f64 v[110:111], v[110:111], v[112:113]
	v_add_f64 v[112:113], v[104:105], -v[102:103]
	v_add_f64 v[84:85], v[84:85], v[104:105]
	v_add_f64 v[104:105], v[104:105], -v[106:107]
	v_fma_f64 v[98:99], v[110:111], s[12:13], v[98:99]
	v_fma_f64 v[110:111], v[110:111], s[12:13], v[86:87]
	v_add_f64 v[86:87], v[102:103], v[108:109]
	v_add_f64 v[112:113], v[112:113], v[114:115]
	;; [unrolled: 1-line block ×3, first 2 shown]
	v_add_f64 v[102:103], v[102:103], -v[108:109]
	v_add_f64 v[106:107], v[90:91], -v[92:93]
	v_fma_f64 v[86:87], v[86:87], -0.5, v[0:1]
	v_add_f64 v[84:85], v[84:85], v[108:109]
	v_add_f64 v[108:109], v[96:97], -v[94:95]
	v_fma_f64 v[0:1], v[100:101], s[18:19], v[86:87]
	v_fma_f64 v[86:87], v[100:101], s[20:21], v[86:87]
	v_add_f64 v[100:101], v[92:93], v[94:95]
	v_add_f64 v[106:107], v[106:107], v[108:109]
	v_fma_f64 v[0:1], v[88:89], s[16:17], v[0:1]
	v_fma_f64 v[86:87], v[88:89], s[22:23], v[86:87]
	v_fma_f64 v[0:1], v[112:113], s[12:13], v[0:1]
	v_fma_f64 v[88:89], v[112:113], s[12:13], v[86:87]
	v_fma_f64 v[112:113], v[100:101], -0.5, v[2:3]
	v_add_f64 v[86:87], v[2:3], v[90:91]
	v_fma_f64 v[100:101], v[102:103], s[18:19], v[112:113]
	v_fma_f64 v[108:109], v[102:103], s[20:21], v[112:113]
	v_add_f64 v[86:87], v[86:87], v[92:93]
	v_fma_f64 v[100:101], v[104:105], s[22:23], v[100:101]
	v_fma_f64 v[108:109], v[104:105], s[16:17], v[108:109]
	;; [unrolled: 3-line block ×3, first 2 shown]
	v_add_f64 v[106:107], v[90:91], v[96:97]
	v_add_f64 v[90:91], v[92:93], -v[90:91]
	v_add_f64 v[92:93], v[94:95], -v[96:97]
	v_add_f64 v[86:87], v[86:87], v[96:97]
	v_fma_f64 v[106:107], v[106:107], -0.5, v[2:3]
	v_add_f64 v[90:91], v[90:91], v[92:93]
	v_fma_f64 v[2:3], v[104:105], s[20:21], v[106:107]
	v_fma_f64 v[92:93], v[104:105], s[18:19], v[106:107]
	;; [unrolled: 1-line block ×6, first 2 shown]
	v_mul_u32_u24_e32 v92, 55, v132
	v_add_lshl_u32 v92, v92, v133, 4
	ds_write_b128 v92, v[16:19]
	ds_write_b128 v92, v[24:27] offset:176
	ds_write_b128 v92, v[32:35] offset:352
	;; [unrolled: 1-line block ×3, first 2 shown]
	v_mul_u32_u24_e32 v16, 55, v134
	v_add_lshl_u32 v16, v16, v135, 4
	ds_write_b128 v92, v[20:23] offset:704
	ds_write_b128 v16, v[36:39]
	ds_write_b128 v16, v[44:47] offset:176
	ds_write_b128 v16, v[48:51] offset:352
	;; [unrolled: 1-line block ×3, first 2 shown]
	v_mul_u32_u24_e32 v12, 55, v136
	v_add_lshl_u32 v253, v12, v137, 4
	buffer_store_dword v16, off, s[40:43], 0 offset:864 ; 4-byte Folded Spill
	ds_write_b128 v16, v[40:43] offset:704
	ds_write_b128 v253, v[52:55]
	ds_write_b128 v253, v[60:63] offset:176
	ds_write_b128 v253, v[64:67] offset:352
	;; [unrolled: 1-line block ×4, first 2 shown]
	v_mul_u32_u24_e32 v8, 55, v138
	v_add_lshl_u32 v252, v8, v139, 4
	ds_write_b128 v252, v[68:71]
	ds_write_b128 v252, v[76:79] offset:176
	ds_write_b128 v252, v[80:83] offset:352
	;; [unrolled: 1-line block ×4, first 2 shown]
	v_mad_legacy_u16 v4, v140, 55, v141
	v_lshlrev_b32_e32 v251, 4, v4
	ds_write_b128 v251, v[84:87]
	ds_write_b128 v251, v[98:101] offset:176
	ds_write_b128 v251, v[0:3] offset:352
	;; [unrolled: 1-line block ×4, first 2 shown]
	v_lshlrev_b32_e32 v100, 6, v254
	v_mov_b32_e32 v255, v92
	s_waitcnt lgkmcnt(0)
	; wave barrier
	s_waitcnt lgkmcnt(0)
	ds_read_b128 v[36:39], v223
	ds_read_b128 v[52:55], v223 offset:4400
	ds_read_b128 v[56:59], v223 offset:8800
	;; [unrolled: 1-line block ×24, first 2 shown]
	global_load_dwordx4 v[200:203], v100, s[2:3] offset:752
	global_load_dwordx4 v[204:207], v100, s[2:3] offset:736
	;; [unrolled: 1-line block ×4, first 2 shown]
	v_add_co_u32_e64 v132, s[0:1], s2, v100
	v_addc_co_u32_e64 v133, s[0:1], 0, v181, s[0:1]
	s_movk_i32 s0, 0x95
	s_waitcnt vmcnt(0) lgkmcnt(14)
	v_mul_f64 v[100:101], v[54:55], v[214:215]
	v_fma_f64 v[124:125], v[52:53], v[212:213], -v[100:101]
	v_mul_f64 v[52:53], v[52:53], v[214:215]
	v_fma_f64 v[52:53], v[54:55], v[212:213], v[52:53]
	v_mul_f64 v[54:55], v[58:59], v[210:211]
	v_fma_f64 v[126:127], v[56:57], v[208:209], -v[54:55]
	v_mul_f64 v[54:55], v[56:57], v[210:211]
	v_fma_f64 v[56:57], v[58:59], v[208:209], v[54:55]
	v_mul_f64 v[54:55], v[62:63], v[206:207]
	v_mul_f64 v[58:59], v[68:69], v[214:215]
	v_fma_f64 v[128:129], v[60:61], v[204:205], -v[54:55]
	v_mul_f64 v[54:55], v[60:61], v[206:207]
	v_mul_f64 v[60:61], v[74:75], v[210:211]
	v_fma_f64 v[58:59], v[70:71], v[212:213], v[58:59]
	v_fma_f64 v[120:121], v[62:63], v[204:205], v[54:55]
	v_mul_f64 v[54:55], v[66:67], v[202:203]
	v_mul_f64 v[62:63], v[78:79], v[206:207]
	v_fma_f64 v[130:131], v[64:65], v[200:201], -v[54:55]
	v_mul_f64 v[54:55], v[64:65], v[202:203]
	v_mul_f64 v[64:65], v[82:83], v[202:203]
	v_fma_f64 v[122:123], v[66:67], v[200:201], v[54:55]
	v_mul_f64 v[54:55], v[70:71], v[214:215]
	v_fma_f64 v[118:119], v[80:81], v[200:201], -v[64:65]
	v_mul_f64 v[64:65], v[80:81], v[202:203]
	v_mul_lo_u16_sdwa v66, v194, s0 dst_sel:DWORD dst_unused:UNUSED_PAD src0_sel:BYTE_0 src1_sel:DWORD
	v_lshrrev_b16_e32 v66, 13, v66
	v_mul_lo_u16_e32 v66, 55, v66
	v_sub_u16_e32 v134, v194, v66
	v_fma_f64 v[54:55], v[68:69], v[212:213], -v[54:55]
	v_fma_f64 v[68:69], v[72:73], v[208:209], -v[60:61]
	v_mul_f64 v[60:61], v[72:73], v[210:211]
	v_fma_f64 v[72:73], v[76:77], v[204:205], -v[62:63]
	v_mul_f64 v[62:63], v[76:77], v[206:207]
	v_fma_f64 v[64:65], v[82:83], v[200:201], v[64:65]
	v_mov_b32_e32 v82, 6
	v_lshlrev_b32_sdwa v66, v82, v134 dst_sel:DWORD dst_unused:UNUSED_PAD src0_sel:DWORD src1_sel:BYTE_0
	v_mul_lo_u16_sdwa v83, v166, s0 dst_sel:DWORD dst_unused:UNUSED_PAD src0_sel:BYTE_0 src1_sel:DWORD
	v_lshrrev_b16_e32 v83, 13, v83
	v_fma_f64 v[60:61], v[74:75], v[208:209], v[60:61]
	v_mul_lo_u16_e32 v83, 55, v83
	v_fma_f64 v[62:63], v[78:79], v[204:205], v[62:63]
	global_load_dwordx4 v[100:103], v66, s[2:3] offset:752
	global_load_dwordx4 v[104:107], v66, s[2:3] offset:736
	;; [unrolled: 1-line block ×4, first 2 shown]
	v_sub_u16_e32 v135, v166, v83
	v_lshlrev_b32_sdwa v82, v82, v135 dst_sel:DWORD dst_unused:UNUSED_PAD src0_sel:DWORD src1_sel:BYTE_0
	s_movk_i32 s0, 0x29e5
	s_waitcnt vmcnt(0) lgkmcnt(13)
	v_mul_f64 v[66:67], v[86:87], v[76:77]
	v_mul_f64 v[70:71], v[84:85], v[76:77]
	v_fma_f64 v[66:67], v[84:85], v[74:75], -v[66:67]
	buffer_store_dword v74, off, s[40:43], 0 offset:848 ; 4-byte Folded Spill
	s_nop 0
	buffer_store_dword v75, off, s[40:43], 0 offset:852 ; 4-byte Folded Spill
	buffer_store_dword v76, off, s[40:43], 0 offset:856 ; 4-byte Folded Spill
	;; [unrolled: 1-line block ×3, first 2 shown]
	s_waitcnt lgkmcnt(12)
	v_mul_f64 v[76:77], v[88:89], v[80:81]
	v_fma_f64 v[74:75], v[86:87], v[74:75], v[70:71]
	v_mul_f64 v[70:71], v[90:91], v[80:81]
	v_fma_f64 v[70:71], v[88:89], v[78:79], -v[70:71]
	buffer_store_dword v78, off, s[40:43], 0 offset:832 ; 4-byte Folded Spill
	s_nop 0
	buffer_store_dword v79, off, s[40:43], 0 offset:836 ; 4-byte Folded Spill
	buffer_store_dword v80, off, s[40:43], 0 offset:840 ; 4-byte Folded Spill
	;; [unrolled: 1-line block ×3, first 2 shown]
	s_waitcnt lgkmcnt(10)
	v_mul_f64 v[80:81], v[98:99], v[102:103]
	v_fma_f64 v[88:89], v[96:97], v[100:101], -v[80:81]
	v_mul_f64 v[80:81], v[96:97], v[102:103]
	v_fma_f64 v[76:77], v[90:91], v[78:79], v[76:77]
	v_mul_f64 v[78:79], v[94:95], v[106:107]
	v_fma_f64 v[84:85], v[92:93], v[104:105], -v[78:79]
	v_mul_f64 v[78:79], v[92:93], v[106:107]
	buffer_store_dword v104, off, s[40:43], 0 offset:816 ; 4-byte Folded Spill
	s_nop 0
	buffer_store_dword v105, off, s[40:43], 0 offset:820 ; 4-byte Folded Spill
	buffer_store_dword v106, off, s[40:43], 0 offset:824 ; 4-byte Folded Spill
	;; [unrolled: 1-line block ×4, first 2 shown]
	s_nop 0
	buffer_store_dword v101, off, s[40:43], 0 offset:804 ; 4-byte Folded Spill
	buffer_store_dword v102, off, s[40:43], 0 offset:808 ; 4-byte Folded Spill
	;; [unrolled: 1-line block ×3, first 2 shown]
	v_fma_f64 v[78:79], v[94:95], v[104:105], v[78:79]
	v_fma_f64 v[80:81], v[98:99], v[100:101], v[80:81]
	global_load_dwordx4 v[96:99], v82, s[2:3] offset:752
	global_load_dwordx4 v[100:103], v82, s[2:3] offset:736
	global_load_dwordx4 v[92:95], v82, s[2:3] offset:720
	global_load_dwordx4 v[104:107], v82, s[2:3] offset:704
	s_movk_i32 s3, 0x1000
	s_waitcnt vmcnt(0) lgkmcnt(8)
	v_mul_f64 v[82:83], v[50:51], v[106:107]
	v_fma_f64 v[82:83], v[48:49], v[104:105], -v[82:83]
	v_mul_f64 v[48:49], v[48:49], v[106:107]
	buffer_store_dword v104, off, s[40:43], 0 offset:916 ; 4-byte Folded Spill
	s_nop 0
	buffer_store_dword v105, off, s[40:43], 0 offset:920 ; 4-byte Folded Spill
	buffer_store_dword v106, off, s[40:43], 0 offset:924 ; 4-byte Folded Spill
	;; [unrolled: 1-line block ×3, first 2 shown]
	v_fma_f64 v[90:91], v[50:51], v[104:105], v[48:49]
	s_waitcnt lgkmcnt(7)
	v_mul_f64 v[48:49], v[46:47], v[94:95]
	v_add_f64 v[50:51], v[120:121], -v[122:123]
	v_fma_f64 v[86:87], v[44:45], v[92:93], -v[48:49]
	v_mul_f64 v[44:45], v[44:45], v[94:95]
	buffer_store_dword v92, off, s[40:43], 0 offset:900 ; 4-byte Folded Spill
	s_nop 0
	buffer_store_dword v93, off, s[40:43], 0 offset:904 ; 4-byte Folded Spill
	buffer_store_dword v94, off, s[40:43], 0 offset:908 ; 4-byte Folded Spill
	;; [unrolled: 1-line block ×3, first 2 shown]
	v_fma_f64 v[92:93], v[46:47], v[92:93], v[44:45]
	s_waitcnt lgkmcnt(6)
	v_mul_f64 v[44:45], v[6:7], v[102:103]
	v_fma_f64 v[106:107], v[4:5], v[100:101], -v[44:45]
	v_mul_f64 v[4:5], v[4:5], v[102:103]
	buffer_store_dword v100, off, s[40:43], 0 offset:884 ; 4-byte Folded Spill
	s_nop 0
	buffer_store_dword v101, off, s[40:43], 0 offset:888 ; 4-byte Folded Spill
	buffer_store_dword v102, off, s[40:43], 0 offset:892 ; 4-byte Folded Spill
	;; [unrolled: 1-line block ×3, first 2 shown]
	v_fma_f64 v[94:95], v[6:7], v[100:101], v[4:5]
	s_waitcnt lgkmcnt(5)
	v_mul_f64 v[4:5], v[2:3], v[98:99]
	v_fma_f64 v[108:109], v[0:1], v[96:97], -v[4:5]
	v_mul_f64 v[0:1], v[0:1], v[98:99]
	buffer_store_dword v96, off, s[40:43], 0 offset:868 ; 4-byte Folded Spill
	s_nop 0
	buffer_store_dword v97, off, s[40:43], 0 offset:872 ; 4-byte Folded Spill
	buffer_store_dword v98, off, s[40:43], 0 offset:876 ; 4-byte Folded Spill
	;; [unrolled: 1-line block ×3, first 2 shown]
	v_fma_f64 v[96:97], v[2:3], v[96:97], v[0:1]
	v_mul_u32_u24_sdwa v0, v180, s0 dst_sel:DWORD dst_unused:UNUSED_PAD src0_sel:WORD_0 src1_sel:DWORD
	v_sub_u16_sdwa v1, v180, v0 dst_sel:DWORD dst_unused:UNUSED_PAD src0_sel:DWORD src1_sel:WORD_1
	v_lshrrev_b16_e32 v1, 1, v1
	v_add_u16_sdwa v0, v1, v0 dst_sel:DWORD dst_unused:UNUSED_PAD src0_sel:DWORD src1_sel:WORD_1
	v_lshrrev_b16_e32 v0, 5, v0
	v_mul_lo_u16_e32 v0, 55, v0
	v_sub_u16_e32 v136, v180, v0
	v_lshlrev_b16_e32 v0, 6, v136
	v_add_co_u32_e64 v4, s[0:1], s2, v0
	v_addc_co_u32_e64 v5, s[0:1], 0, v181, s[0:1]
	global_load_dwordx4 v[46:49], v[4:5], off offset:752
	global_load_dwordx4 v[102:105], v[4:5], off offset:736
	;; [unrolled: 1-line block ×3, first 2 shown]
	s_nop 0
	global_load_dwordx4 v[4:7], v[4:5], off offset:704
	v_lshlrev_b32_e32 v233, 4, v136
	s_waitcnt vmcnt(0) lgkmcnt(3)
	v_mul_f64 v[44:45], v[42:43], v[6:7]
	v_fma_f64 v[110:111], v[40:41], v[4:5], -v[44:45]
	v_mul_f64 v[40:41], v[40:41], v[6:7]
	v_add_f64 v[44:45], v[124:125], -v[130:131]
	v_fma_f64 v[98:99], v[42:43], v[4:5], v[40:41]
	s_waitcnt lgkmcnt(2)
	v_mul_f64 v[40:41], v[34:35], v[2:3]
	v_add_f64 v[42:43], v[128:129], -v[130:131]
	v_fma_f64 v[112:113], v[32:33], v[0:1], -v[40:41]
	v_mul_f64 v[32:33], v[32:33], v[2:3]
	v_add_f64 v[40:41], v[130:131], -v[128:129]
	v_fma_f64 v[100:101], v[34:35], v[0:1], v[32:33]
	s_waitcnt lgkmcnt(1)
	v_mul_f64 v[32:33], v[30:31], v[104:105]
	v_add_f64 v[34:35], v[56:57], -v[120:121]
	v_fma_f64 v[114:115], v[28:29], v[102:103], -v[32:33]
	v_mul_f64 v[28:29], v[28:29], v[104:105]
	buffer_store_dword v102, off, s[40:43], 0 offset:948 ; 4-byte Folded Spill
	s_nop 0
	buffer_store_dword v103, off, s[40:43], 0 offset:952 ; 4-byte Folded Spill
	buffer_store_dword v104, off, s[40:43], 0 offset:956 ; 4-byte Folded Spill
	;; [unrolled: 1-line block ×3, first 2 shown]
	v_add_f64 v[32:33], v[124:125], -v[126:127]
	v_add_f64 v[40:41], v[32:33], v[40:41]
	v_fma_f64 v[102:103], v[30:31], v[102:103], v[28:29]
	s_waitcnt lgkmcnt(0)
	v_mul_f64 v[28:29], v[26:27], v[48:49]
	v_add_f64 v[30:31], v[52:53], -v[122:123]
	v_fma_f64 v[116:117], v[24:25], v[46:47], -v[28:29]
	v_mul_f64 v[24:25], v[24:25], v[48:49]
	buffer_store_dword v46, off, s[40:43], 0 offset:932 ; 4-byte Folded Spill
	s_nop 0
	buffer_store_dword v47, off, s[40:43], 0 offset:936 ; 4-byte Folded Spill
	buffer_store_dword v48, off, s[40:43], 0 offset:940 ; 4-byte Folded Spill
	;; [unrolled: 1-line block ×3, first 2 shown]
	v_add_f64 v[48:49], v[122:123], -v[120:121]
	s_waitcnt lgkmcnt(0)
	; wave barrier
	v_fma_f64 v[104:105], v[26:27], v[46:47], v[24:25]
	v_add_f64 v[26:27], v[126:127], v[128:129]
	v_add_f64 v[24:25], v[36:37], v[124:125]
	v_add_f64 v[46:47], v[126:127], -v[128:129]
	v_fma_f64 v[26:27], v[26:27], -0.5, v[36:37]
	v_add_f64 v[24:25], v[24:25], v[126:127]
	v_fma_f64 v[28:29], v[30:31], s[20:21], v[26:27]
	v_fma_f64 v[26:27], v[30:31], s[18:19], v[26:27]
	v_add_f64 v[24:25], v[24:25], v[128:129]
	v_fma_f64 v[28:29], v[34:35], s[16:17], v[28:29]
	v_fma_f64 v[26:27], v[34:35], s[22:23], v[26:27]
	;; [unrolled: 3-line block ×3, first 2 shown]
	v_add_f64 v[26:27], v[124:125], v[130:131]
	v_add_f64 v[40:41], v[126:127], -v[124:125]
	v_fma_f64 v[26:27], v[26:27], -0.5, v[36:37]
	v_add_f64 v[42:43], v[40:41], v[42:43]
	v_fma_f64 v[36:37], v[34:35], s[18:19], v[26:27]
	v_fma_f64 v[26:27], v[34:35], s[20:21], v[26:27]
	;; [unrolled: 1-line block ×4, first 2 shown]
	v_add_f64 v[30:31], v[56:57], v[120:121]
	v_fma_f64 v[40:41], v[42:43], s[12:13], v[36:37]
	v_fma_f64 v[36:37], v[42:43], s[12:13], v[26:27]
	v_fma_f64 v[30:31], v[30:31], -0.5, v[38:39]
	v_add_f64 v[42:43], v[52:53], -v[56:57]
	v_add_f64 v[26:27], v[38:39], v[52:53]
	v_fma_f64 v[34:35], v[44:45], s[18:19], v[30:31]
	v_fma_f64 v[30:31], v[44:45], s[20:21], v[30:31]
	v_add_f64 v[42:43], v[42:43], v[48:49]
	v_add_f64 v[48:49], v[56:57], -v[52:53]
	v_add_f64 v[26:27], v[26:27], v[56:57]
	v_add_f64 v[56:57], v[118:119], -v[72:73]
	v_fma_f64 v[34:35], v[46:47], s[22:23], v[34:35]
	v_fma_f64 v[30:31], v[46:47], s[16:17], v[30:31]
	v_add_f64 v[48:49], v[48:49], v[50:51]
	v_add_f64 v[50:51], v[58:59], -v[64:65]
	v_add_f64 v[26:27], v[26:27], v[120:121]
	v_add_f64 v[120:121], v[60:61], -v[62:63]
	;; [unrolled: 6-line block ×3, first 2 shown]
	v_fma_f64 v[38:39], v[42:43], -0.5, v[38:39]
	v_add_f64 v[56:57], v[52:53], v[56:57]
	v_fma_f64 v[42:43], v[46:47], s[20:21], v[38:39]
	v_fma_f64 v[38:39], v[46:47], s[18:19], v[38:39]
	v_add_f64 v[46:47], v[68:69], v[72:73]
	v_fma_f64 v[42:43], v[44:45], s[22:23], v[42:43]
	v_fma_f64 v[38:39], v[44:45], s[16:17], v[38:39]
	v_fma_f64 v[46:47], v[46:47], -0.5, v[20:21]
	v_add_f64 v[44:45], v[20:21], v[54:55]
	v_fma_f64 v[42:43], v[48:49], s[12:13], v[42:43]
	v_fma_f64 v[38:39], v[48:49], s[12:13], v[38:39]
	v_fma_f64 v[48:49], v[50:51], s[20:21], v[46:47]
	v_fma_f64 v[46:47], v[50:51], s[18:19], v[46:47]
	v_add_f64 v[44:45], v[44:45], v[68:69]
	v_fma_f64 v[48:49], v[120:121], s[16:17], v[48:49]
	v_fma_f64 v[46:47], v[120:121], s[22:23], v[46:47]
	v_add_f64 v[44:45], v[44:45], v[72:73]
	v_fma_f64 v[52:53], v[56:57], s[12:13], v[48:49]
	v_fma_f64 v[48:49], v[56:57], s[12:13], v[46:47]
	v_add_f64 v[46:47], v[54:55], v[118:119]
	v_add_f64 v[44:45], v[44:45], v[118:119]
	v_add_f64 v[118:119], v[54:55], -v[118:119]
	v_add_f64 v[56:57], v[68:69], -v[54:55]
	;; [unrolled: 1-line block ×4, first 2 shown]
	v_fma_f64 v[20:21], v[46:47], -0.5, v[20:21]
	v_add_f64 v[122:123], v[56:57], v[122:123]
	v_fma_f64 v[46:47], v[120:121], s[18:19], v[20:21]
	v_fma_f64 v[20:21], v[120:121], s[20:21], v[20:21]
	v_add_f64 v[120:121], v[64:65], -v[62:63]
	v_fma_f64 v[46:47], v[50:51], s[16:17], v[46:47]
	v_fma_f64 v[20:21], v[50:51], s[22:23], v[20:21]
	v_add_f64 v[50:51], v[60:61], v[62:63]
	v_add_f64 v[72:73], v[72:73], v[120:121]
	v_add_f64 v[120:121], v[76:77], -v[78:79]
	v_fma_f64 v[56:57], v[122:123], s[12:13], v[46:47]
	v_add_f64 v[46:47], v[22:23], v[58:59]
	v_fma_f64 v[50:51], v[50:51], -0.5, v[22:23]
	v_fma_f64 v[20:21], v[122:123], s[12:13], v[20:21]
	v_add_f64 v[122:123], v[84:85], -v[88:89]
	v_add_f64 v[46:47], v[46:47], v[60:61]
	v_fma_f64 v[54:55], v[118:119], s[18:19], v[50:51]
	v_fma_f64 v[50:51], v[118:119], s[20:21], v[50:51]
	v_add_f64 v[46:47], v[46:47], v[62:63]
	v_fma_f64 v[54:55], v[68:69], s[22:23], v[54:55]
	v_fma_f64 v[50:51], v[68:69], s[16:17], v[50:51]
	v_add_f64 v[46:47], v[46:47], v[64:65]
	v_fma_f64 v[54:55], v[72:73], s[12:13], v[54:55]
	v_fma_f64 v[50:51], v[72:73], s[12:13], v[50:51]
	v_add_f64 v[72:73], v[58:59], v[64:65]
	v_add_f64 v[58:59], v[60:61], -v[58:59]
	v_add_f64 v[60:61], v[62:63], -v[64:65]
	v_add_f64 v[62:63], v[70:71], v[84:85]
	v_fma_f64 v[22:23], v[72:73], -0.5, v[22:23]
	v_add_f64 v[60:61], v[58:59], v[60:61]
	v_fma_f64 v[62:63], v[62:63], -0.5, v[16:17]
	v_fma_f64 v[72:73], v[68:69], s[20:21], v[22:23]
	v_fma_f64 v[22:23], v[68:69], s[18:19], v[22:23]
	v_add_f64 v[68:69], v[66:67], -v[70:71]
	v_fma_f64 v[72:73], v[118:119], s[22:23], v[72:73]
	v_fma_f64 v[22:23], v[118:119], s[16:17], v[22:23]
	v_add_f64 v[118:119], v[74:75], -v[80:81]
	v_fma_f64 v[58:59], v[60:61], s[12:13], v[72:73]
	v_add_f64 v[72:73], v[88:89], -v[84:85]
	v_fma_f64 v[64:65], v[118:119], s[20:21], v[62:63]
	v_fma_f64 v[62:63], v[118:119], s[18:19], v[62:63]
	;; [unrolled: 1-line block ×3, first 2 shown]
	v_add_f64 v[60:61], v[16:17], v[66:67]
	ds_write_b128 v223, v[24:27]
	ds_write_b128 v223, v[32:35] offset:880
	ds_write_b128 v223, v[40:43] offset:1760
	;; [unrolled: 1-line block ×9, first 2 shown]
	v_mov_b32_e32 v20, 4
	v_lshlrev_b32_sdwa v21, v20, v134 dst_sel:DWORD dst_unused:UNUSED_PAD src0_sel:DWORD src1_sel:BYTE_0
	v_add_f64 v[72:73], v[68:69], v[72:73]
	v_fma_f64 v[64:65], v[120:121], s[16:17], v[64:65]
	v_fma_f64 v[62:63], v[120:121], s[22:23], v[62:63]
	v_add_f64 v[60:61], v[60:61], v[70:71]
	v_fma_f64 v[68:69], v[72:73], s[12:13], v[64:65]
	v_fma_f64 v[64:65], v[72:73], s[12:13], v[62:63]
	v_add_f64 v[62:63], v[66:67], v[88:89]
	v_add_f64 v[60:61], v[60:61], v[84:85]
	v_add_f64 v[72:73], v[70:71], -v[66:67]
	v_add_f64 v[84:85], v[70:71], -v[84:85]
	;; [unrolled: 1-line block ×3, first 2 shown]
	v_fma_f64 v[16:17], v[62:63], -0.5, v[16:17]
	v_add_f64 v[60:61], v[60:61], v[88:89]
	v_add_f64 v[88:89], v[66:67], -v[88:89]
	v_add_f64 v[122:123], v[72:73], v[122:123]
	v_fma_f64 v[62:63], v[120:121], s[18:19], v[16:17]
	v_fma_f64 v[16:17], v[120:121], s[20:21], v[16:17]
	v_add_f64 v[120:121], v[80:81], -v[78:79]
	v_fma_f64 v[62:63], v[118:119], s[16:17], v[62:63]
	v_fma_f64 v[16:17], v[118:119], s[22:23], v[16:17]
	v_add_f64 v[118:119], v[76:77], v[78:79]
	v_add_f64 v[120:121], v[70:71], v[120:121]
	v_fma_f64 v[72:73], v[122:123], s[12:13], v[62:63]
	v_add_f64 v[62:63], v[18:19], v[74:75]
	v_fma_f64 v[118:119], v[118:119], -0.5, v[18:19]
	v_fma_f64 v[16:17], v[122:123], s[12:13], v[16:17]
	v_add_f64 v[122:123], v[106:107], -v[108:109]
	v_add_f64 v[62:63], v[62:63], v[76:77]
	v_fma_f64 v[66:67], v[88:89], s[18:19], v[118:119]
	v_add_f64 v[62:63], v[62:63], v[78:79]
	v_fma_f64 v[66:67], v[84:85], s[22:23], v[66:67]
	;; [unrolled: 2-line block ×3, first 2 shown]
	v_fma_f64 v[66:67], v[88:89], s[20:21], v[118:119]
	v_add_f64 v[118:119], v[74:75], v[80:81]
	v_add_f64 v[74:75], v[76:77], -v[74:75]
	v_add_f64 v[76:77], v[78:79], -v[80:81]
	v_add_f64 v[78:79], v[86:87], v[106:107]
	v_fma_f64 v[66:67], v[84:85], s[16:17], v[66:67]
	v_fma_f64 v[18:19], v[118:119], -0.5, v[18:19]
	v_add_f64 v[76:77], v[74:75], v[76:77]
	v_fma_f64 v[78:79], v[78:79], -0.5, v[12:13]
	v_fma_f64 v[66:67], v[120:121], s[12:13], v[66:67]
	v_fma_f64 v[118:119], v[84:85], s[20:21], v[18:19]
	;; [unrolled: 1-line block ×3, first 2 shown]
	v_add_f64 v[120:121], v[92:93], -v[94:95]
	v_add_f64 v[84:85], v[82:83], -v[86:87]
	v_fma_f64 v[118:119], v[88:89], s[22:23], v[118:119]
	v_fma_f64 v[18:19], v[88:89], s[16:17], v[18:19]
	v_add_f64 v[88:89], v[108:109], -v[106:107]
	v_fma_f64 v[74:75], v[76:77], s[12:13], v[118:119]
	v_add_f64 v[118:119], v[90:91], -v[96:97]
	v_add_f64 v[88:89], v[84:85], v[88:89]
	v_fma_f64 v[18:19], v[76:77], s[12:13], v[18:19]
	v_add_f64 v[76:77], v[12:13], v[82:83]
	ds_write_b128 v21, v[60:63] offset:8800
	ds_write_b128 v21, v[68:71] offset:9680
	ds_write_b128 v21, v[72:75] offset:10560
	ds_write_b128 v21, v[16:19] offset:11440
	v_fma_f64 v[80:81], v[118:119], s[20:21], v[78:79]
	v_fma_f64 v[78:79], v[118:119], s[18:19], v[78:79]
	v_lshlrev_b32_sdwa v16, v20, v135 dst_sel:DWORD dst_unused:UNUSED_PAD src0_sel:DWORD src1_sel:BYTE_0
	v_add_f64 v[76:77], v[76:77], v[86:87]
	v_add_co_u32_e64 v20, s[0:1], s24, v132
	buffer_store_dword v21, off, s[40:43], 0 offset:964 ; 4-byte Folded Spill
	ds_write_b128 v21, v[64:67] offset:12320
	v_fma_f64 v[80:81], v[120:121], s[16:17], v[80:81]
	v_fma_f64 v[78:79], v[120:121], s[22:23], v[78:79]
	v_addc_co_u32_e64 v21, s[0:1], 0, v133, s[0:1]
	v_add_f64 v[76:77], v[76:77], v[106:107]
	v_add_f64 v[106:107], v[86:87], -v[106:107]
	v_fma_f64 v[84:85], v[88:89], s[12:13], v[80:81]
	v_fma_f64 v[80:81], v[88:89], s[12:13], v[78:79]
	v_add_f64 v[78:79], v[82:83], v[108:109]
	v_add_f64 v[88:89], v[86:87], -v[82:83]
	v_add_f64 v[76:77], v[76:77], v[108:109]
	v_add_f64 v[108:109], v[82:83], -v[108:109]
	v_add_f64 v[86:87], v[90:91], -v[92:93]
	v_fma_f64 v[12:13], v[78:79], -0.5, v[12:13]
	v_add_f64 v[122:123], v[88:89], v[122:123]
	v_fma_f64 v[78:79], v[120:121], s[18:19], v[12:13]
	v_fma_f64 v[12:13], v[120:121], s[20:21], v[12:13]
	v_add_f64 v[120:121], v[96:97], -v[94:95]
	v_fma_f64 v[78:79], v[118:119], s[16:17], v[78:79]
	v_fma_f64 v[12:13], v[118:119], s[22:23], v[12:13]
	v_add_f64 v[118:119], v[92:93], v[94:95]
	v_add_f64 v[120:121], v[86:87], v[120:121]
	v_fma_f64 v[88:89], v[122:123], s[12:13], v[78:79]
	v_add_f64 v[78:79], v[14:15], v[90:91]
	v_fma_f64 v[118:119], v[118:119], -0.5, v[14:15]
	v_fma_f64 v[12:13], v[122:123], s[12:13], v[12:13]
	v_add_f64 v[122:123], v[114:115], -v[116:117]
	v_add_f64 v[78:79], v[78:79], v[92:93]
	v_fma_f64 v[82:83], v[108:109], s[18:19], v[118:119]
	v_add_f64 v[78:79], v[78:79], v[94:95]
	v_fma_f64 v[82:83], v[106:107], s[22:23], v[82:83]
	;; [unrolled: 2-line block ×3, first 2 shown]
	v_fma_f64 v[82:83], v[108:109], s[20:21], v[118:119]
	v_add_f64 v[118:119], v[90:91], v[96:97]
	v_add_f64 v[90:91], v[92:93], -v[90:91]
	v_add_f64 v[92:93], v[94:95], -v[96:97]
	v_add_f64 v[94:95], v[112:113], v[114:115]
	v_add_f64 v[96:97], v[98:99], -v[104:105]
	v_fma_f64 v[82:83], v[106:107], s[16:17], v[82:83]
	v_fma_f64 v[14:15], v[118:119], -0.5, v[14:15]
	v_add_f64 v[92:93], v[90:91], v[92:93]
	v_fma_f64 v[94:95], v[94:95], -0.5, v[8:9]
	v_fma_f64 v[82:83], v[120:121], s[12:13], v[82:83]
	v_fma_f64 v[118:119], v[106:107], s[20:21], v[14:15]
	;; [unrolled: 1-line block ×3, first 2 shown]
	v_add_f64 v[120:121], v[116:117], -v[114:115]
	v_fma_f64 v[106:107], v[96:97], s[20:21], v[94:95]
	v_fma_f64 v[94:95], v[96:97], s[18:19], v[94:95]
	;; [unrolled: 1-line block ×4, first 2 shown]
	v_add_f64 v[108:109], v[100:101], -v[102:103]
	v_fma_f64 v[90:91], v[92:93], s[12:13], v[118:119]
	v_add_f64 v[118:119], v[110:111], -v[112:113]
	v_fma_f64 v[106:107], v[108:109], s[16:17], v[106:107]
	v_fma_f64 v[94:95], v[108:109], s[22:23], v[94:95]
	;; [unrolled: 1-line block ×3, first 2 shown]
	v_add_f64 v[92:93], v[8:9], v[110:111]
	ds_write_b128 v16, v[76:79] offset:13200
	ds_write_b128 v16, v[84:87] offset:14080
	;; [unrolled: 1-line block ×4, first 2 shown]
	v_add_f64 v[118:119], v[118:119], v[120:121]
	v_add_f64 v[120:121], v[112:113], -v[110:111]
	buffer_store_dword v16, off, s[40:43], 0 offset:968 ; 4-byte Folded Spill
	v_add_f64 v[92:93], v[92:93], v[112:113]
	v_add_f64 v[112:113], v[112:113], -v[114:115]
	ds_write_b128 v16, v[80:83] offset:16720
	v_fma_f64 v[106:107], v[118:119], s[12:13], v[106:107]
	v_fma_f64 v[118:119], v[118:119], s[12:13], v[94:95]
	v_add_f64 v[94:95], v[110:111], v[116:117]
	v_add_f64 v[92:93], v[92:93], v[114:115]
	;; [unrolled: 1-line block ×3, first 2 shown]
	v_add_f64 v[110:111], v[110:111], -v[116:117]
	v_add_f64 v[114:115], v[98:99], -v[100:101]
	v_fma_f64 v[94:95], v[94:95], -0.5, v[8:9]
	v_add_f64 v[92:93], v[92:93], v[116:117]
	v_add_f64 v[116:117], v[104:105], -v[102:103]
	v_fma_f64 v[8:9], v[108:109], s[18:19], v[94:95]
	v_fma_f64 v[94:95], v[108:109], s[20:21], v[94:95]
	v_add_f64 v[108:109], v[100:101], v[102:103]
	v_add_f64 v[114:115], v[114:115], v[116:117]
	v_fma_f64 v[8:9], v[96:97], s[16:17], v[8:9]
	v_fma_f64 v[94:95], v[96:97], s[22:23], v[94:95]
	;; [unrolled: 1-line block ×4, first 2 shown]
	v_fma_f64 v[120:121], v[108:109], -0.5, v[10:11]
	v_add_f64 v[94:95], v[10:11], v[98:99]
	v_fma_f64 v[108:109], v[110:111], s[18:19], v[120:121]
	v_fma_f64 v[116:117], v[110:111], s[20:21], v[120:121]
	v_add_f64 v[94:95], v[94:95], v[100:101]
	v_fma_f64 v[108:109], v[112:113], s[22:23], v[108:109]
	v_fma_f64 v[116:117], v[112:113], s[16:17], v[116:117]
	;; [unrolled: 3-line block ×3, first 2 shown]
	v_add_f64 v[114:115], v[98:99], v[104:105]
	v_add_f64 v[98:99], v[100:101], -v[98:99]
	v_add_f64 v[100:101], v[102:103], -v[104:105]
	v_add_f64 v[94:95], v[94:95], v[104:105]
	v_fma_f64 v[114:115], v[114:115], -0.5, v[10:11]
	v_add_f64 v[98:99], v[98:99], v[100:101]
	v_fma_f64 v[10:11], v[112:113], s[20:21], v[114:115]
	v_fma_f64 v[100:101], v[112:113], s[18:19], v[114:115]
	;; [unrolled: 1-line block ×6, first 2 shown]
	ds_write_b128 v233, v[92:95] offset:17600
	ds_write_b128 v233, v[106:109] offset:18480
	;; [unrolled: 1-line block ×5, first 2 shown]
	v_add_co_u32_e64 v8, s[0:1], s3, v132
	v_addc_co_u32_e64 v9, s[0:1], 0, v133, s[0:1]
	s_waitcnt lgkmcnt(0)
	; wave barrier
	s_waitcnt lgkmcnt(0)
	ds_read_b128 v[116:119], v223
	ds_read_b128 v[24:27], v223 offset:4400
	ds_read_b128 v[28:31], v223 offset:8800
	ds_read_b128 v[32:35], v223 offset:13200
	ds_read_b128 v[36:39], v223 offset:17600
	ds_read_b128 v[100:103], v223 offset:880
	ds_read_b128 v[40:43], v223 offset:5280
	ds_read_b128 v[44:47], v223 offset:9680
	ds_read_b128 v[48:51], v223 offset:14080
	ds_read_b128 v[52:55], v223 offset:18480
	ds_read_b128 v[96:99], v223 offset:1760
	ds_read_b128 v[68:71], v223 offset:6160
	ds_read_b128 v[64:67], v223 offset:10560
	ds_read_b128 v[60:63], v223 offset:14960
	ds_read_b128 v[56:59], v223 offset:19360
	ds_read_b128 v[92:95], v223 offset:2640
	ds_read_b128 v[84:87], v223 offset:7040
	ds_read_b128 v[80:83], v223 offset:11440
	ds_read_b128 v[76:79], v223 offset:15840
	ds_read_b128 v[72:75], v223 offset:20240
	ds_read_b128 v[88:91], v223 offset:3520
	ds_read_b128 v[120:123], v223 offset:7920
	ds_read_b128 v[112:115], v223 offset:12320
	ds_read_b128 v[108:111], v223 offset:16720
	ds_read_b128 v[104:107], v223 offset:21120
	global_load_dwordx4 v[16:19], v[8:9], off offset:128
	s_nop 0
	global_load_dwordx4 v[8:11], v[20:21], off offset:48
	global_load_dwordx4 v[12:15], v[20:21], off offset:32
	s_nop 0
	global_load_dwordx4 v[20:23], v[20:21], off offset:16
	s_waitcnt vmcnt(3) lgkmcnt(14)
	v_mul_f64 v[124:125], v[26:27], v[18:19]
	v_fma_f64 v[132:133], v[24:25], v[16:17], -v[124:125]
	v_mul_f64 v[24:25], v[24:25], v[18:19]
	v_fma_f64 v[124:125], v[26:27], v[16:17], v[24:25]
	s_waitcnt vmcnt(0)
	v_mul_f64 v[24:25], v[30:31], v[22:23]
	v_fma_f64 v[136:137], v[28:29], v[20:21], -v[24:25]
	v_mul_f64 v[24:25], v[28:29], v[22:23]
	v_fma_f64 v[126:127], v[30:31], v[20:21], v[24:25]
	v_mul_f64 v[24:25], v[34:35], v[14:15]
	v_fma_f64 v[172:173], v[32:33], v[12:13], -v[24:25]
	v_mul_f64 v[24:25], v[32:33], v[14:15]
	v_fma_f64 v[128:129], v[34:35], v[12:13], v[24:25]
	;; [unrolled: 4-line block ×3, first 2 shown]
	v_lshlrev_b32_e32 v24, 6, v195
	v_add_co_u32_e64 v24, s[0:1], s2, v24
	v_addc_co_u32_e64 v25, s[0:1], 0, v181, s[0:1]
	v_add_co_u32_e64 v36, s[0:1], s24, v24
	v_addc_co_u32_e64 v37, s[0:1], 0, v25, s[0:1]
	;; [unrolled: 2-line block ×3, first 2 shown]
	global_load_dwordx4 v[32:35], v[24:25], off offset:128
	s_nop 0
	global_load_dwordx4 v[24:27], v[36:37], off offset:48
	global_load_dwordx4 v[28:31], v[36:37], off offset:32
	s_nop 0
	global_load_dwordx4 v[36:39], v[36:37], off offset:16
	s_waitcnt vmcnt(3)
	v_mul_f64 v[134:135], v[42:43], v[34:35]
	v_fma_f64 v[134:135], v[40:41], v[32:33], -v[134:135]
	v_mul_f64 v[40:41], v[40:41], v[34:35]
	v_fma_f64 v[138:139], v[42:43], v[32:33], v[40:41]
	s_waitcnt vmcnt(0)
	v_mul_f64 v[40:41], v[46:47], v[38:39]
	v_fma_f64 v[148:149], v[44:45], v[36:37], -v[40:41]
	v_mul_f64 v[40:41], v[44:45], v[38:39]
	v_fma_f64 v[140:141], v[46:47], v[36:37], v[40:41]
	v_mul_f64 v[40:41], v[50:51], v[30:31]
	v_fma_f64 v[152:153], v[48:49], v[28:29], -v[40:41]
	v_mul_f64 v[40:41], v[48:49], v[30:31]
	v_fma_f64 v[142:143], v[50:51], v[28:29], v[40:41]
	;; [unrolled: 4-line block ×3, first 2 shown]
	v_lshlrev_b32_e32 v40, 6, v194
	v_add_co_u32_e64 v40, s[0:1], s2, v40
	v_addc_co_u32_e64 v41, s[0:1], 0, v181, s[0:1]
	v_add_co_u32_e64 v52, s[0:1], s24, v40
	v_addc_co_u32_e64 v53, s[0:1], 0, v41, s[0:1]
	;; [unrolled: 2-line block ×3, first 2 shown]
	global_load_dwordx4 v[48:51], v[40:41], off offset:128
	s_nop 0
	global_load_dwordx4 v[40:43], v[52:53], off offset:48
	global_load_dwordx4 v[44:47], v[52:53], off offset:32
	s_nop 0
	global_load_dwordx4 v[52:55], v[52:53], off offset:16
	s_waitcnt vmcnt(3) lgkmcnt(13)
	v_mul_f64 v[146:147], v[70:71], v[50:51]
	v_fma_f64 v[146:147], v[68:69], v[48:49], -v[146:147]
	v_mul_f64 v[68:69], v[68:69], v[50:51]
	v_fma_f64 v[154:155], v[70:71], v[48:49], v[68:69]
	s_waitcnt vmcnt(0) lgkmcnt(12)
	v_mul_f64 v[68:69], v[66:67], v[54:55]
	v_fma_f64 v[150:151], v[64:65], v[52:53], -v[68:69]
	v_mul_f64 v[64:65], v[64:65], v[54:55]
	v_fma_f64 v[158:159], v[66:67], v[52:53], v[64:65]
	s_waitcnt lgkmcnt(11)
	v_mul_f64 v[64:65], v[62:63], v[46:47]
	v_fma_f64 v[164:165], v[60:61], v[44:45], -v[64:65]
	v_mul_f64 v[60:61], v[60:61], v[46:47]
	v_fma_f64 v[160:161], v[62:63], v[44:45], v[60:61]
	s_waitcnt lgkmcnt(10)
	v_mul_f64 v[60:61], v[58:59], v[42:43]
	v_fma_f64 v[168:169], v[56:57], v[40:41], -v[60:61]
	v_mul_f64 v[56:57], v[56:57], v[42:43]
	v_fma_f64 v[162:163], v[58:59], v[40:41], v[56:57]
	v_lshlrev_b32_e32 v56, 6, v166
	v_add_co_u32_e64 v56, s[0:1], s2, v56
	v_addc_co_u32_e64 v57, s[0:1], 0, v181, s[0:1]
	v_add_co_u32_e64 v64, s[0:1], s24, v56
	v_addc_co_u32_e64 v65, s[0:1], 0, v57, s[0:1]
	;; [unrolled: 2-line block ×3, first 2 shown]
	global_load_dwordx4 v[68:71], v[56:57], off offset:128
	s_nop 0
	global_load_dwordx4 v[56:59], v[64:65], off offset:48
	global_load_dwordx4 v[60:63], v[64:65], off offset:32
	s_nop 0
	global_load_dwordx4 v[64:67], v[64:65], off offset:16
	s_waitcnt vmcnt(3) lgkmcnt(8)
	v_mul_f64 v[166:167], v[86:87], v[70:71]
	v_fma_f64 v[166:167], v[84:85], v[68:69], -v[166:167]
	v_mul_f64 v[84:85], v[84:85], v[70:71]
	v_fma_f64 v[174:175], v[86:87], v[68:69], v[84:85]
	s_waitcnt vmcnt(0) lgkmcnt(7)
	v_mul_f64 v[84:85], v[82:83], v[66:67]
	v_fma_f64 v[170:171], v[80:81], v[64:65], -v[84:85]
	v_mul_f64 v[80:81], v[80:81], v[66:67]
	v_fma_f64 v[178:179], v[82:83], v[64:65], v[80:81]
	s_waitcnt lgkmcnt(6)
	v_mul_f64 v[80:81], v[78:79], v[62:63]
	v_fma_f64 v[218:219], v[76:77], v[60:61], -v[80:81]
	v_mul_f64 v[76:77], v[76:77], v[62:63]
	v_fma_f64 v[198:199], v[78:79], v[60:61], v[76:77]
	s_waitcnt lgkmcnt(5)
	v_mul_f64 v[76:77], v[74:75], v[58:59]
	v_fma_f64 v[220:221], v[72:73], v[56:57], -v[76:77]
	v_mul_f64 v[72:73], v[72:73], v[58:59]
	v_fma_f64 v[216:217], v[74:75], v[56:57], v[72:73]
	v_lshlrev_b32_e32 v72, 6, v180
	v_add_co_u32_e64 v72, s[0:1], s2, v72
	v_addc_co_u32_e64 v73, s[0:1], 0, v181, s[0:1]
	v_add_co_u32_e64 v80, s[0:1], s24, v72
	v_addc_co_u32_e64 v81, s[0:1], 0, v73, s[0:1]
	v_add_co_u32_e64 v72, s[0:1], s3, v72
	v_addc_co_u32_e64 v73, s[0:1], 0, v73, s[0:1]
	global_load_dwordx4 v[84:87], v[72:73], off offset:128
	s_nop 0
	global_load_dwordx4 v[72:75], v[80:81], off offset:48
	global_load_dwordx4 v[76:79], v[80:81], off offset:32
	s_nop 0
	global_load_dwordx4 v[80:83], v[80:81], off offset:16
	s_waitcnt vmcnt(3) lgkmcnt(3)
	v_mul_f64 v[180:181], v[122:123], v[86:87]
	v_fma_f64 v[188:189], v[120:121], v[84:85], -v[180:181]
	v_mul_f64 v[120:121], v[120:121], v[86:87]
	v_fma_f64 v[180:181], v[122:123], v[84:85], v[120:121]
	s_waitcnt vmcnt(0) lgkmcnt(2)
	v_mul_f64 v[120:121], v[114:115], v[82:83]
	v_add_f64 v[122:123], v[172:173], -v[176:177]
	v_fma_f64 v[190:191], v[112:113], v[80:81], -v[120:121]
	v_mul_f64 v[112:113], v[112:113], v[82:83]
	v_add_f64 v[120:121], v[176:177], -v[172:173]
	v_fma_f64 v[182:183], v[114:115], v[80:81], v[112:113]
	s_waitcnt lgkmcnt(1)
	v_mul_f64 v[112:113], v[110:111], v[78:79]
	v_add_f64 v[114:115], v[126:127], -v[128:129]
	v_fma_f64 v[194:195], v[108:109], v[76:77], -v[112:113]
	v_mul_f64 v[108:109], v[108:109], v[78:79]
	v_add_f64 v[112:113], v[132:133], -v[136:137]
	v_fma_f64 v[184:185], v[110:111], v[76:77], v[108:109]
	s_waitcnt lgkmcnt(0)
	v_mul_f64 v[108:109], v[106:107], v[74:75]
	v_add_f64 v[110:111], v[124:125], -v[130:131]
	v_add_f64 v[120:121], v[112:113], v[120:121]
	v_fma_f64 v[196:197], v[104:105], v[72:73], -v[108:109]
	v_mul_f64 v[104:105], v[104:105], v[74:75]
	v_fma_f64 v[186:187], v[106:107], v[72:73], v[104:105]
	v_add_f64 v[106:107], v[136:137], v[172:173]
	v_add_f64 v[104:105], v[116:117], v[132:133]
	v_fma_f64 v[106:107], v[106:107], -0.5, v[116:117]
	v_add_f64 v[104:105], v[104:105], v[136:137]
	v_fma_f64 v[108:109], v[110:111], s[20:21], v[106:107]
	v_fma_f64 v[106:107], v[110:111], s[18:19], v[106:107]
	v_add_f64 v[104:105], v[104:105], v[172:173]
	v_fma_f64 v[108:109], v[114:115], s[16:17], v[108:109]
	v_fma_f64 v[106:107], v[114:115], s[22:23], v[106:107]
	;; [unrolled: 3-line block ×3, first 2 shown]
	v_add_f64 v[106:107], v[132:133], v[176:177]
	v_add_f64 v[120:121], v[136:137], -v[132:133]
	v_add_f64 v[132:133], v[132:133], -v[176:177]
	;; [unrolled: 1-line block ×5, first 2 shown]
	v_fma_f64 v[106:107], v[106:107], -0.5, v[116:117]
	v_add_f64 v[122:123], v[120:121], v[122:123]
	v_fma_f64 v[116:117], v[114:115], s[18:19], v[106:107]
	v_fma_f64 v[106:107], v[114:115], s[20:21], v[106:107]
	;; [unrolled: 1-line block ×4, first 2 shown]
	v_add_f64 v[110:111], v[126:127], v[128:129]
	v_fma_f64 v[120:121], v[122:123], s[12:13], v[116:117]
	v_fma_f64 v[116:117], v[122:123], s[12:13], v[106:107]
	v_fma_f64 v[110:111], v[110:111], -0.5, v[118:119]
	v_add_f64 v[122:123], v[124:125], -v[126:127]
	v_add_f64 v[106:107], v[118:119], v[124:125]
	v_fma_f64 v[114:115], v[132:133], s[18:19], v[110:111]
	v_fma_f64 v[110:111], v[132:133], s[20:21], v[110:111]
	v_add_f64 v[122:123], v[122:123], v[172:173]
	v_add_f64 v[106:107], v[106:107], v[126:127]
	v_add_f64 v[172:173], v[140:141], -v[142:143]
	v_fma_f64 v[114:115], v[136:137], s[22:23], v[114:115]
	v_fma_f64 v[110:111], v[136:137], s[16:17], v[110:111]
	v_add_f64 v[106:107], v[106:107], v[128:129]
	v_fma_f64 v[114:115], v[122:123], s[12:13], v[114:115]
	v_fma_f64 v[110:111], v[122:123], s[12:13], v[110:111]
	v_add_f64 v[122:123], v[124:125], v[130:131]
	v_add_f64 v[124:125], v[126:127], -v[124:125]
	v_add_f64 v[126:127], v[128:129], -v[130:131]
	v_add_f64 v[106:107], v[106:107], v[130:131]
	v_add_f64 v[130:131], v[138:139], -v[144:145]
	v_fma_f64 v[118:119], v[122:123], -0.5, v[118:119]
	v_add_f64 v[124:125], v[124:125], v[126:127]
	v_add_f64 v[126:127], v[148:149], v[152:153]
	v_fma_f64 v[122:123], v[136:137], s[20:21], v[118:119]
	v_fma_f64 v[118:119], v[136:137], s[18:19], v[118:119]
	v_add_f64 v[136:137], v[156:157], -v[152:153]
	v_fma_f64 v[126:127], v[126:127], -0.5, v[100:101]
	v_fma_f64 v[122:123], v[132:133], s[22:23], v[122:123]
	v_fma_f64 v[118:119], v[132:133], s[16:17], v[118:119]
	v_add_f64 v[132:133], v[134:135], -v[148:149]
	v_fma_f64 v[128:129], v[130:131], s[20:21], v[126:127]
	v_fma_f64 v[126:127], v[130:131], s[18:19], v[126:127]
	;; [unrolled: 1-line block ×4, first 2 shown]
	v_add_f64 v[136:137], v[132:133], v[136:137]
	v_fma_f64 v[128:129], v[172:173], s[16:17], v[128:129]
	v_fma_f64 v[126:127], v[172:173], s[22:23], v[126:127]
	v_add_f64 v[124:125], v[100:101], v[134:135]
	v_fma_f64 v[132:133], v[136:137], s[12:13], v[128:129]
	v_fma_f64 v[128:129], v[136:137], s[12:13], v[126:127]
	v_add_f64 v[126:127], v[134:135], v[156:157]
	v_add_f64 v[124:125], v[124:125], v[148:149]
	v_add_f64 v[136:137], v[148:149], -v[134:135]
	v_add_f64 v[148:149], v[148:149], -v[152:153]
	v_fma_f64 v[100:101], v[126:127], -0.5, v[100:101]
	v_add_f64 v[124:125], v[124:125], v[152:153]
	v_add_f64 v[152:153], v[138:139], -v[140:141]
	v_add_f64 v[176:177], v[136:137], v[176:177]
	v_fma_f64 v[126:127], v[172:173], s[18:19], v[100:101]
	v_fma_f64 v[100:101], v[172:173], s[20:21], v[100:101]
	v_add_f64 v[124:125], v[124:125], v[156:157]
	v_add_f64 v[156:157], v[134:135], -v[156:157]
	v_add_f64 v[172:173], v[144:145], -v[142:143]
	v_fma_f64 v[126:127], v[130:131], s[16:17], v[126:127]
	v_fma_f64 v[100:101], v[130:131], s[22:23], v[100:101]
	v_add_f64 v[130:131], v[140:141], v[142:143]
	v_add_f64 v[152:153], v[152:153], v[172:173]
	v_add_f64 v[172:173], v[158:159], -v[160:161]
	v_fma_f64 v[136:137], v[176:177], s[12:13], v[126:127]
	v_add_f64 v[126:127], v[102:103], v[138:139]
	v_fma_f64 v[130:131], v[130:131], -0.5, v[102:103]
	v_fma_f64 v[100:101], v[176:177], s[12:13], v[100:101]
	v_add_f64 v[176:177], v[164:165], -v[168:169]
	v_add_f64 v[126:127], v[126:127], v[140:141]
	v_fma_f64 v[134:135], v[156:157], s[18:19], v[130:131]
	v_fma_f64 v[130:131], v[156:157], s[20:21], v[130:131]
	v_add_f64 v[126:127], v[126:127], v[142:143]
	v_fma_f64 v[134:135], v[148:149], s[22:23], v[134:135]
	v_fma_f64 v[130:131], v[148:149], s[16:17], v[130:131]
	v_add_f64 v[126:127], v[126:127], v[144:145]
	v_fma_f64 v[134:135], v[152:153], s[12:13], v[134:135]
	v_fma_f64 v[130:131], v[152:153], s[12:13], v[130:131]
	v_add_f64 v[152:153], v[138:139], v[144:145]
	v_add_f64 v[138:139], v[140:141], -v[138:139]
	v_add_f64 v[140:141], v[142:143], -v[144:145]
	v_add_f64 v[142:143], v[150:151], v[164:165]
	v_fma_f64 v[102:103], v[152:153], -0.5, v[102:103]
	v_add_f64 v[140:141], v[138:139], v[140:141]
	v_fma_f64 v[142:143], v[142:143], -0.5, v[96:97]
	v_fma_f64 v[152:153], v[148:149], s[20:21], v[102:103]
	v_fma_f64 v[102:103], v[148:149], s[18:19], v[102:103]
	v_add_f64 v[148:149], v[146:147], -v[150:151]
	v_fma_f64 v[152:153], v[156:157], s[22:23], v[152:153]
	v_fma_f64 v[102:103], v[156:157], s[16:17], v[102:103]
	v_add_f64 v[156:157], v[168:169], -v[164:165]
	v_fma_f64 v[138:139], v[140:141], s[12:13], v[152:153]
	v_add_f64 v[152:153], v[154:155], -v[162:163]
	v_add_f64 v[156:157], v[148:149], v[156:157]
	v_fma_f64 v[102:103], v[140:141], s[12:13], v[102:103]
	v_add_f64 v[140:141], v[96:97], v[146:147]
	v_fma_f64 v[144:145], v[152:153], s[20:21], v[142:143]
	v_fma_f64 v[142:143], v[152:153], s[18:19], v[142:143]
	v_add_f64 v[140:141], v[140:141], v[150:151]
	v_fma_f64 v[144:145], v[172:173], s[16:17], v[144:145]
	v_fma_f64 v[142:143], v[172:173], s[22:23], v[142:143]
	v_add_f64 v[140:141], v[140:141], v[164:165]
	v_add_f64 v[164:165], v[150:151], -v[164:165]
	v_fma_f64 v[148:149], v[156:157], s[12:13], v[144:145]
	v_fma_f64 v[144:145], v[156:157], s[12:13], v[142:143]
	v_add_f64 v[142:143], v[146:147], v[168:169]
	v_add_f64 v[156:157], v[150:151], -v[146:147]
	v_add_f64 v[140:141], v[140:141], v[168:169]
	v_add_f64 v[168:169], v[146:147], -v[168:169]
	v_add_f64 v[150:151], v[154:155], -v[158:159]
	v_fma_f64 v[96:97], v[142:143], -0.5, v[96:97]
	v_add_f64 v[176:177], v[156:157], v[176:177]
	v_fma_f64 v[142:143], v[172:173], s[18:19], v[96:97]
	v_fma_f64 v[96:97], v[172:173], s[20:21], v[96:97]
	v_add_f64 v[172:173], v[162:163], -v[160:161]
	v_fma_f64 v[142:143], v[152:153], s[16:17], v[142:143]
	v_fma_f64 v[96:97], v[152:153], s[22:23], v[96:97]
	v_add_f64 v[172:173], v[150:151], v[172:173]
	v_fma_f64 v[156:157], v[176:177], s[12:13], v[142:143]
	v_fma_f64 v[152:153], v[176:177], s[12:13], v[96:97]
	v_add_f64 v[96:97], v[98:99], v[154:155]
	v_add_f64 v[176:177], v[218:219], -v[220:221]
	v_add_f64 v[96:97], v[96:97], v[158:159]
	v_add_f64 v[96:97], v[96:97], v[160:161]
	;; [unrolled: 1-line block ×4, first 2 shown]
	v_fma_f64 v[96:97], v[96:97], -0.5, v[98:99]
	v_fma_f64 v[146:147], v[168:169], s[18:19], v[96:97]
	v_fma_f64 v[96:97], v[168:169], s[20:21], v[96:97]
	v_fma_f64 v[146:147], v[164:165], s[22:23], v[146:147]
	v_fma_f64 v[96:97], v[164:165], s[16:17], v[96:97]
	v_fma_f64 v[150:151], v[172:173], s[12:13], v[146:147]
	v_fma_f64 v[146:147], v[172:173], s[12:13], v[96:97]
	v_add_f64 v[96:97], v[154:155], v[162:163]
	v_add_f64 v[154:155], v[158:159], -v[154:155]
	v_add_f64 v[158:159], v[160:161], -v[162:163]
	;; [unrolled: 1-line block ×3, first 2 shown]
	v_fma_f64 v[96:97], v[96:97], -0.5, v[98:99]
	v_add_f64 v[154:155], v[154:155], v[158:159]
	v_fma_f64 v[98:99], v[164:165], s[20:21], v[96:97]
	v_fma_f64 v[96:97], v[164:165], s[18:19], v[96:97]
	v_add_f64 v[164:165], v[166:167], -v[170:171]
	v_fma_f64 v[98:99], v[168:169], s[22:23], v[98:99]
	v_fma_f64 v[96:97], v[168:169], s[16:17], v[96:97]
	v_add_f64 v[168:169], v[220:221], -v[218:219]
	v_fma_f64 v[158:159], v[154:155], s[12:13], v[98:99]
	v_fma_f64 v[154:155], v[154:155], s[12:13], v[96:97]
	v_add_f64 v[96:97], v[92:93], v[166:167]
	v_add_f64 v[98:99], v[174:175], -v[216:217]
	v_add_f64 v[164:165], v[164:165], v[168:169]
	v_add_f64 v[96:97], v[96:97], v[170:171]
	;; [unrolled: 1-line block ×5, first 2 shown]
	v_add_f64 v[218:219], v[170:171], -v[218:219]
	v_fma_f64 v[96:97], v[96:97], -0.5, v[92:93]
	v_fma_f64 v[162:163], v[98:99], s[20:21], v[96:97]
	v_fma_f64 v[96:97], v[98:99], s[18:19], v[96:97]
	;; [unrolled: 1-line block ×6, first 2 shown]
	v_add_f64 v[96:97], v[166:167], v[220:221]
	v_add_f64 v[162:163], v[170:171], -v[166:167]
	v_add_f64 v[170:171], v[216:217], -v[198:199]
	v_fma_f64 v[92:93], v[96:97], -0.5, v[92:93]
	v_add_f64 v[162:163], v[162:163], v[176:177]
	v_fma_f64 v[96:97], v[172:173], s[18:19], v[92:93]
	v_fma_f64 v[92:93], v[172:173], s[20:21], v[92:93]
	;; [unrolled: 1-line block ×6, first 2 shown]
	v_add_f64 v[92:93], v[94:95], v[174:175]
	v_add_f64 v[96:97], v[166:167], -v[220:221]
	v_add_f64 v[166:167], v[174:175], -v[178:179]
	v_add_f64 v[92:93], v[92:93], v[178:179]
	v_add_f64 v[166:167], v[166:167], v[170:171]
	v_add_f64 v[92:93], v[92:93], v[198:199]
	v_add_f64 v[162:163], v[92:93], v[216:217]
	v_add_f64 v[92:93], v[178:179], v[198:199]
	v_fma_f64 v[92:93], v[92:93], -0.5, v[94:95]
	v_fma_f64 v[98:99], v[96:97], s[18:19], v[92:93]
	v_fma_f64 v[92:93], v[96:97], s[20:21], v[92:93]
	;; [unrolled: 1-line block ×6, first 2 shown]
	v_add_f64 v[92:93], v[174:175], v[216:217]
	v_add_f64 v[98:99], v[178:179], -v[174:175]
	v_add_f64 v[174:175], v[198:199], -v[216:217]
	;; [unrolled: 1-line block ×3, first 2 shown]
	v_fma_f64 v[92:93], v[92:93], -0.5, v[94:95]
	v_add_f64 v[98:99], v[98:99], v[174:175]
	v_fma_f64 v[94:95], v[218:219], s[20:21], v[92:93]
	v_fma_f64 v[92:93], v[218:219], s[18:19], v[92:93]
	v_add_f64 v[218:219], v[196:197], -v[194:195]
	v_fma_f64 v[94:95], v[96:97], s[22:23], v[94:95]
	v_fma_f64 v[92:93], v[96:97], s[16:17], v[92:93]
	v_add_f64 v[198:199], v[198:199], v[218:219]
	v_add_f64 v[218:219], v[194:195], -v[196:197]
	v_fma_f64 v[178:179], v[98:99], s[12:13], v[94:95]
	v_fma_f64 v[174:175], v[98:99], s[12:13], v[92:93]
	v_add_f64 v[92:93], v[88:89], v[188:189]
	v_add_f64 v[94:95], v[180:181], -v[186:187]
	v_add_f64 v[98:99], v[182:183], -v[184:185]
	v_add_f64 v[92:93], v[92:93], v[190:191]
	v_add_f64 v[92:93], v[92:93], v[194:195]
	;; [unrolled: 1-line block ×4, first 2 shown]
	v_fma_f64 v[92:93], v[92:93], -0.5, v[88:89]
	v_fma_f64 v[96:97], v[94:95], s[20:21], v[92:93]
	v_fma_f64 v[92:93], v[94:95], s[18:19], v[92:93]
	;; [unrolled: 1-line block ×5, first 2 shown]
	v_add_f64 v[96:97], v[188:189], v[196:197]
	v_fma_f64 v[92:93], v[198:199], s[12:13], v[92:93]
	v_add_f64 v[198:199], v[190:191], -v[188:189]
	v_add_f64 v[190:191], v[190:191], -v[194:195]
	;; [unrolled: 1-line block ×3, first 2 shown]
	v_fma_f64 v[96:97], v[96:97], -0.5, v[88:89]
	v_add_f64 v[198:199], v[198:199], v[218:219]
	v_fma_f64 v[88:89], v[98:99], s[18:19], v[96:97]
	v_fma_f64 v[96:97], v[98:99], s[20:21], v[96:97]
	v_add_f64 v[98:99], v[188:189], -v[196:197]
	v_add_f64 v[196:197], v[186:187], -v[184:185]
	v_fma_f64 v[88:89], v[94:95], s[16:17], v[88:89]
	v_fma_f64 v[94:95], v[94:95], s[22:23], v[96:97]
	v_add_f64 v[194:195], v[194:195], v[196:197]
	v_fma_f64 v[88:89], v[198:199], s[12:13], v[88:89]
	v_fma_f64 v[96:97], v[198:199], s[12:13], v[94:95]
	v_add_f64 v[94:95], v[90:91], v[180:181]
	v_add_f64 v[94:95], v[94:95], v[182:183]
	;; [unrolled: 1-line block ×5, first 2 shown]
	v_fma_f64 v[94:95], v[94:95], -0.5, v[90:91]
	v_fma_f64 v[188:189], v[98:99], s[18:19], v[94:95]
	v_fma_f64 v[94:95], v[98:99], s[20:21], v[94:95]
	;; [unrolled: 1-line block ×5, first 2 shown]
	v_add_f64 v[188:189], v[180:181], v[186:187]
	v_add_f64 v[180:181], v[182:183], -v[180:181]
	v_add_f64 v[182:183], v[184:185], -v[186:187]
	v_fma_f64 v[94:95], v[194:195], s[12:13], v[94:95]
	v_fma_f64 v[188:189], v[188:189], -0.5, v[90:91]
	v_add_f64 v[180:181], v[180:181], v[182:183]
	v_fma_f64 v[90:91], v[190:191], s[20:21], v[188:189]
	v_fma_f64 v[182:183], v[190:191], s[18:19], v[188:189]
	;; [unrolled: 1-line block ×6, first 2 shown]
	ds_write_b128 v223, v[104:107]
	ds_write_b128 v223, v[112:115] offset:4400
	ds_write_b128 v223, v[120:123] offset:8800
	;; [unrolled: 1-line block ×24, first 2 shown]
	v_add_co_u32_e64 v108, s[0:1], s4, v223
	v_mov_b32_e32 v104, s5
	s_waitcnt lgkmcnt(0)
	; wave barrier
	s_waitcnt lgkmcnt(0)
	ds_read_b128 v[100:103], v223
	v_addc_co_u32_e64 v109, s[0:1], 0, v104, s[0:1]
	global_load_dwordx4 v[104:107], v223, s[4:5]
	s_waitcnt vmcnt(0) lgkmcnt(0)
	v_mul_f64 v[110:111], v[102:103], v[106:107]
	v_fma_f64 v[110:111], v[100:101], v[104:105], -v[110:111]
	v_mul_f64 v[100:101], v[100:101], v[106:107]
	v_fma_f64 v[112:113], v[102:103], v[104:105], v[100:101]
	ds_read_b128 v[100:103], v223 offset:2000
	global_load_dwordx4 v[104:107], v223, s[4:5] offset:2000
	ds_write_b128 v223, v[110:113]
	s_waitcnt vmcnt(0) lgkmcnt(1)
	v_mul_f64 v[110:111], v[102:103], v[106:107]
	v_fma_f64 v[110:111], v[100:101], v[104:105], -v[110:111]
	v_mul_f64 v[100:101], v[100:101], v[106:107]
	v_fma_f64 v[112:113], v[102:103], v[104:105], v[100:101]
	ds_read_b128 v[100:103], v223 offset:4000
	global_load_dwordx4 v[104:107], v223, s[4:5] offset:4000
	ds_write_b128 v223, v[110:113] offset:2000
	s_waitcnt vmcnt(0) lgkmcnt(1)
	v_mul_f64 v[110:111], v[102:103], v[106:107]
	v_fma_f64 v[110:111], v[100:101], v[104:105], -v[110:111]
	v_mul_f64 v[100:101], v[100:101], v[106:107]
	v_add_co_u32_e64 v106, s[0:1], s3, v108
	v_addc_co_u32_e64 v107, s[0:1], 0, v109, s[0:1]
	s_movk_i32 s0, 0x2000
	v_fma_f64 v[112:113], v[102:103], v[104:105], v[100:101]
	ds_read_b128 v[100:103], v223 offset:6000
	ds_write_b128 v223, v[110:113] offset:4000
	global_load_dwordx4 v[110:113], v[106:107], off offset:1904
	s_waitcnt vmcnt(0) lgkmcnt(1)
	v_mul_f64 v[104:105], v[102:103], v[112:113]
	v_fma_f64 v[114:115], v[100:101], v[110:111], -v[104:105]
	v_mul_f64 v[100:101], v[100:101], v[112:113]
	v_fma_f64 v[116:117], v[102:103], v[110:111], v[100:101]
	global_load_dwordx4 v[110:113], v[106:107], off offset:3904
	ds_read_b128 v[100:103], v223 offset:8000
	ds_write_b128 v223, v[114:117] offset:6000
	s_waitcnt vmcnt(0) lgkmcnt(1)
	v_mul_f64 v[104:105], v[102:103], v[112:113]
	v_fma_f64 v[114:115], v[100:101], v[110:111], -v[104:105]
	v_mul_f64 v[100:101], v[100:101], v[112:113]
	v_add_co_u32_e64 v104, s[0:1], s0, v108
	v_addc_co_u32_e64 v105, s[0:1], 0, v109, s[0:1]
	s_movk_i32 s0, 0x3000
	v_fma_f64 v[116:117], v[102:103], v[110:111], v[100:101]
	global_load_dwordx4 v[110:113], v[104:105], off offset:1808
	ds_read_b128 v[100:103], v223 offset:10000
	ds_write_b128 v223, v[114:117] offset:8000
	s_waitcnt vmcnt(0) lgkmcnt(1)
	v_mul_f64 v[114:115], v[102:103], v[112:113]
	v_fma_f64 v[114:115], v[100:101], v[110:111], -v[114:115]
	v_mul_f64 v[100:101], v[100:101], v[112:113]
	v_fma_f64 v[116:117], v[102:103], v[110:111], v[100:101]
	global_load_dwordx4 v[110:113], v[104:105], off offset:3808
	ds_read_b128 v[100:103], v223 offset:12000
	ds_write_b128 v223, v[114:117] offset:10000
	s_waitcnt vmcnt(0) lgkmcnt(1)
	v_mul_f64 v[114:115], v[102:103], v[112:113]
	v_fma_f64 v[114:115], v[100:101], v[110:111], -v[114:115]
	v_mul_f64 v[100:101], v[100:101], v[112:113]
	v_fma_f64 v[116:117], v[102:103], v[110:111], v[100:101]
	v_add_co_u32_e64 v102, s[0:1], s0, v108
	v_addc_co_u32_e64 v103, s[0:1], 0, v109, s[0:1]
	ds_read_b128 v[110:113], v223 offset:14000
	s_movk_i32 s0, 0x4000
	ds_write_b128 v223, v[114:117] offset:12000
	global_load_dwordx4 v[114:117], v[102:103], off offset:1712
	s_waitcnt vmcnt(0) lgkmcnt(1)
	v_mul_f64 v[100:101], v[112:113], v[116:117]
	v_fma_f64 v[118:119], v[110:111], v[114:115], -v[100:101]
	v_mul_f64 v[100:101], v[110:111], v[116:117]
	v_fma_f64 v[120:121], v[112:113], v[114:115], v[100:101]
	global_load_dwordx4 v[114:117], v[102:103], off offset:3712
	ds_read_b128 v[110:113], v223 offset:16000
	ds_write_b128 v223, v[118:121] offset:14000
	s_waitcnt vmcnt(0) lgkmcnt(1)
	v_mul_f64 v[100:101], v[112:113], v[116:117]
	v_fma_f64 v[118:119], v[110:111], v[114:115], -v[100:101]
	v_mul_f64 v[100:101], v[110:111], v[116:117]
	v_fma_f64 v[120:121], v[112:113], v[114:115], v[100:101]
	v_add_co_u32_e64 v100, s[0:1], s0, v108
	v_addc_co_u32_e64 v101, s[0:1], 0, v109, s[0:1]
	global_load_dwordx4 v[114:117], v[100:101], off offset:1616
	ds_read_b128 v[110:113], v223 offset:18000
	s_movk_i32 s0, 0x5000
	ds_write_b128 v223, v[118:121] offset:16000
	s_waitcnt vmcnt(0) lgkmcnt(1)
	v_mul_f64 v[118:119], v[112:113], v[116:117]
	v_fma_f64 v[118:119], v[110:111], v[114:115], -v[118:119]
	v_mul_f64 v[110:111], v[110:111], v[116:117]
	v_fma_f64 v[120:121], v[112:113], v[114:115], v[110:111]
	global_load_dwordx4 v[114:117], v[100:101], off offset:3616
	ds_read_b128 v[110:113], v223 offset:20000
	ds_write_b128 v223, v[118:121] offset:18000
	s_waitcnt vmcnt(0) lgkmcnt(1)
	v_mul_f64 v[118:119], v[112:113], v[116:117]
	v_fma_f64 v[118:119], v[110:111], v[114:115], -v[118:119]
	v_mul_f64 v[110:111], v[110:111], v[116:117]
	v_fma_f64 v[120:121], v[112:113], v[114:115], v[110:111]
	ds_read_b128 v[110:113], v223 offset:880
	global_load_dwordx4 v[114:117], v223, s[4:5] offset:880
	ds_write_b128 v223, v[118:121] offset:20000
	s_waitcnt vmcnt(0) lgkmcnt(1)
	v_mul_f64 v[118:119], v[112:113], v[116:117]
	v_fma_f64 v[118:119], v[110:111], v[114:115], -v[118:119]
	v_mul_f64 v[110:111], v[110:111], v[116:117]
	v_fma_f64 v[120:121], v[112:113], v[114:115], v[110:111]
	ds_read_b128 v[110:113], v223 offset:2880
	global_load_dwordx4 v[114:117], v223, s[4:5] offset:2880
	ds_write_b128 v223, v[118:121] offset:880
	s_waitcnt vmcnt(0) lgkmcnt(1)
	v_mul_f64 v[118:119], v[112:113], v[116:117]
	v_fma_f64 v[118:119], v[110:111], v[114:115], -v[118:119]
	v_mul_f64 v[110:111], v[110:111], v[116:117]
	v_fma_f64 v[120:121], v[112:113], v[114:115], v[110:111]
	global_load_dwordx4 v[114:117], v[106:107], off offset:784
	ds_read_b128 v[110:113], v223 offset:4880
	ds_write_b128 v223, v[118:121] offset:2880
	s_waitcnt vmcnt(0) lgkmcnt(1)
	v_mul_f64 v[118:119], v[112:113], v[116:117]
	v_fma_f64 v[118:119], v[110:111], v[114:115], -v[118:119]
	v_mul_f64 v[110:111], v[110:111], v[116:117]
	v_fma_f64 v[120:121], v[112:113], v[114:115], v[110:111]
	global_load_dwordx4 v[114:117], v[106:107], off offset:2784
	ds_read_b128 v[110:113], v223 offset:6880
	;; [unrolled: 8-line block ×8, first 2 shown]
	ds_write_b128 v223, v[118:121] offset:16880
	s_waitcnt vmcnt(0) lgkmcnt(1)
	v_mul_f64 v[118:119], v[112:113], v[116:117]
	v_fma_f64 v[118:119], v[110:111], v[114:115], -v[118:119]
	v_mul_f64 v[110:111], v[110:111], v[116:117]
	v_fma_f64 v[120:121], v[112:113], v[114:115], v[110:111]
	v_add_co_u32_e64 v114, s[0:1], s0, v108
	v_addc_co_u32_e64 v115, s[0:1], 0, v109, s[0:1]
	global_load_dwordx4 v[114:117], v[114:115], off offset:400
	ds_read_b128 v[110:113], v223 offset:20880
	ds_write_b128 v223, v[118:121] offset:18880
	s_waitcnt vmcnt(0) lgkmcnt(1)
	v_mul_f64 v[118:119], v[112:113], v[116:117]
	v_fma_f64 v[118:119], v[110:111], v[114:115], -v[118:119]
	v_mul_f64 v[110:111], v[110:111], v[116:117]
	v_fma_f64 v[120:121], v[112:113], v[114:115], v[110:111]
	ds_write_b128 v223, v[118:121] offset:20880
	s_and_saveexec_b64 s[0:1], vcc
	s_cbranch_execz .LBB0_9
; %bb.8:
	global_load_dwordx4 v[114:117], v[108:109], off offset:1760
	ds_read_b128 v[110:113], v223 offset:1760
	s_waitcnt vmcnt(0) lgkmcnt(0)
	v_mul_f64 v[118:119], v[112:113], v[116:117]
	v_fma_f64 v[118:119], v[110:111], v[114:115], -v[118:119]
	v_mul_f64 v[110:111], v[110:111], v[116:117]
	v_fma_f64 v[120:121], v[112:113], v[114:115], v[110:111]
	global_load_dwordx4 v[114:117], v[108:109], off offset:3760
	ds_read_b128 v[110:113], v223 offset:3760
	ds_write_b128 v223, v[118:121] offset:1760
	s_waitcnt vmcnt(0) lgkmcnt(1)
	v_mul_f64 v[108:109], v[112:113], v[116:117]
	v_fma_f64 v[108:109], v[110:111], v[114:115], -v[108:109]
	v_mul_f64 v[110:111], v[110:111], v[116:117]
	v_fma_f64 v[110:111], v[112:113], v[114:115], v[110:111]
	global_load_dwordx4 v[112:115], v[106:107], off offset:1664
	ds_write_b128 v223, v[108:111] offset:3760
	ds_read_b128 v[108:111], v223 offset:5760
	s_waitcnt vmcnt(0) lgkmcnt(0)
	v_mul_f64 v[116:117], v[110:111], v[114:115]
	v_fma_f64 v[116:117], v[108:109], v[112:113], -v[116:117]
	v_mul_f64 v[108:109], v[108:109], v[114:115]
	v_fma_f64 v[118:119], v[110:111], v[112:113], v[108:109]
	global_load_dwordx4 v[112:115], v[106:107], off offset:3664
	ds_read_b128 v[108:111], v223 offset:7760
	ds_write_b128 v223, v[116:119] offset:5760
	s_waitcnt vmcnt(0) lgkmcnt(1)
	v_mul_f64 v[106:107], v[110:111], v[114:115]
	v_fma_f64 v[106:107], v[108:109], v[112:113], -v[106:107]
	v_mul_f64 v[108:109], v[108:109], v[114:115]
	v_fma_f64 v[108:109], v[110:111], v[112:113], v[108:109]
	global_load_dwordx4 v[110:113], v[104:105], off offset:1568
	ds_write_b128 v223, v[106:109] offset:7760
	;; [unrolled: 16-line block ×4, first 2 shown]
	ds_read_b128 v[102:105], v223 offset:17760
	s_waitcnt vmcnt(0) lgkmcnt(0)
	v_mul_f64 v[110:111], v[104:105], v[108:109]
	v_fma_f64 v[110:111], v[102:103], v[106:107], -v[110:111]
	v_mul_f64 v[102:103], v[102:103], v[108:109]
	v_fma_f64 v[112:113], v[104:105], v[106:107], v[102:103]
	global_load_dwordx4 v[106:109], v[100:101], off offset:3376
	ds_read_b128 v[102:105], v223 offset:19760
	ds_write_b128 v223, v[110:113] offset:17760
	s_waitcnt vmcnt(0) lgkmcnt(1)
	v_mul_f64 v[100:101], v[104:105], v[108:109]
	v_fma_f64 v[100:101], v[102:103], v[106:107], -v[100:101]
	v_mul_f64 v[102:103], v[102:103], v[108:109]
	v_fma_f64 v[102:103], v[104:105], v[106:107], v[102:103]
	v_mov_b32_e32 v104, 0x5500
	v_lshl_or_b32 v104, v254, 4, v104
	global_load_dwordx4 v[104:107], v104, s[4:5]
	ds_write_b128 v223, v[100:103] offset:19760
	ds_read_b128 v[100:103], v223 offset:21760
	s_waitcnt vmcnt(0) lgkmcnt(0)
	v_mul_f64 v[108:109], v[102:103], v[106:107]
	v_fma_f64 v[108:109], v[100:101], v[104:105], -v[108:109]
	v_mul_f64 v[100:101], v[100:101], v[106:107]
	v_fma_f64 v[110:111], v[102:103], v[104:105], v[100:101]
	ds_write_b128 v223, v[108:111] offset:21760
.LBB0_9:
	s_or_b64 exec, exec, s[0:1]
	s_waitcnt lgkmcnt(0)
	; wave barrier
	s_waitcnt lgkmcnt(0)
	ds_read_b128 v[180:183], v223
	ds_read_b128 v[136:139], v223 offset:880
	ds_read_b128 v[184:187], v223 offset:2000
	;; [unrolled: 1-line block ×21, first 2 shown]
	s_and_saveexec_b64 s[0:1], vcc
	s_cbranch_execz .LBB0_11
; %bb.10:
	ds_read_b128 v[88:91], v223 offset:1760
	ds_read_b128 v[96:99], v223 offset:3760
	ds_read_b128 v[92:95], v223 offset:5760
	ds_read_b128 v[108:111], v223 offset:7760
	s_waitcnt lgkmcnt(0)
	buffer_store_dword v108, off, s[40:43], 0 offset:16 ; 4-byte Folded Spill
	s_nop 0
	buffer_store_dword v109, off, s[40:43], 0 offset:20 ; 4-byte Folded Spill
	buffer_store_dword v110, off, s[40:43], 0 offset:24 ; 4-byte Folded Spill
	buffer_store_dword v111, off, s[40:43], 0 offset:28 ; 4-byte Folded Spill
	ds_read_b128 v[108:111], v223 offset:9760
	s_waitcnt lgkmcnt(0)
	buffer_store_dword v108, off, s[40:43], 0 offset:48 ; 4-byte Folded Spill
	s_nop 0
	buffer_store_dword v109, off, s[40:43], 0 offset:52 ; 4-byte Folded Spill
	buffer_store_dword v110, off, s[40:43], 0 offset:56 ; 4-byte Folded Spill
	buffer_store_dword v111, off, s[40:43], 0 offset:60 ; 4-byte Folded Spill
	ds_read_b128 v[108:111], v223 offset:11760
	;; [unrolled: 7-line block ×7, first 2 shown]
	s_waitcnt lgkmcnt(0)
	buffer_store_dword v108, off, s[40:43], 0 ; 4-byte Folded Spill
	s_nop 0
	buffer_store_dword v109, off, s[40:43], 0 offset:4 ; 4-byte Folded Spill
	buffer_store_dword v110, off, s[40:43], 0 offset:8 ; 4-byte Folded Spill
	;; [unrolled: 1-line block ×3, first 2 shown]
.LBB0_11:
	s_or_b64 exec, exec, s[0:1]
	s_waitcnt lgkmcnt(14)
	v_add_f64 v[108:109], v[180:181], v[184:185]
	v_add_f64 v[110:111], v[182:183], v[186:187]
	s_waitcnt lgkmcnt(1)
	v_add_f64 v[196:197], v[186:187], v[190:191]
	v_add_f64 v[186:187], v[186:187], -v[190:191]
	s_mov_b32 s2, 0xf8bb580b
	s_mov_b32 s12, 0x8eee2c13
	;; [unrolled: 1-line block ×4, first 2 shown]
	v_add_f64 v[108:109], v[108:109], v[172:173]
	v_add_f64 v[110:111], v[110:111], v[174:175]
	s_mov_b32 s30, 0xfd768dbf
	s_mov_b32 s3, 0xbfe14ced
	;; [unrolled: 1-line block ×6, first 2 shown]
	v_add_f64 v[108:109], v[108:109], v[164:165]
	v_add_f64 v[110:111], v[110:111], v[166:167]
	;; [unrolled: 1-line block ×3, first 2 shown]
	v_add_f64 v[184:185], v[184:185], -v[188:189]
	v_mul_f64 v[218:219], v[186:187], s[12:13]
	v_mul_f64 v[229:230], v[186:187], s[18:19]
	;; [unrolled: 1-line block ×3, first 2 shown]
	s_mov_b32 s0, 0x8764f0ba
	v_add_f64 v[108:109], v[108:109], v[156:157]
	v_add_f64 v[110:111], v[110:111], v[158:159]
	s_mov_b32 s4, 0xd9c712b6
	s_mov_b32 s16, 0x640f44db
	;; [unrolled: 1-line block ×6, first 2 shown]
	v_add_f64 v[108:109], v[108:109], v[148:149]
	v_add_f64 v[110:111], v[110:111], v[150:151]
	s_mov_b32 s17, 0xbfc2375f
	s_mov_b32 s21, 0xbfe4f49e
	;; [unrolled: 1-line block ×3, first 2 shown]
	v_mul_f64 v[198:199], v[196:197], s[0:1]
	v_fma_f64 v[220:221], v[194:195], s[4:5], v[218:219]
	v_mul_f64 v[225:226], v[196:197], s[4:5]
	v_add_f64 v[108:109], v[108:109], v[152:153]
	v_add_f64 v[110:111], v[110:111], v[154:155]
	v_fma_f64 v[218:219], v[194:195], s[4:5], -v[218:219]
	v_fma_f64 v[236:237], v[194:195], s[20:21], v[234:235]
	v_mul_f64 v[238:239], v[196:197], s[20:21]
	v_fma_f64 v[234:235], v[194:195], s[20:21], -v[234:235]
	s_mov_b32 s25, 0x3fe14ced
	s_mov_b32 s24, s2
	v_add_f64 v[108:109], v[108:109], v[160:161]
	v_add_f64 v[110:111], v[110:111], v[162:163]
	s_mov_b32 s35, 0x3fed1bb4
	s_mov_b32 s34, s12
	;; [unrolled: 1-line block ×6, first 2 shown]
	v_add_f64 v[108:109], v[108:109], v[168:169]
	v_add_f64 v[110:111], v[110:111], v[170:171]
	s_mov_b32 s37, 0x3fd207e7
	s_mov_b32 s36, s30
	v_fma_f64 v[216:217], v[184:185], s[24:25], v[198:199]
	v_fma_f64 v[198:199], v[184:185], s[2:3], v[198:199]
	v_add_f64 v[220:221], v[180:181], v[220:221]
	v_fma_f64 v[227:228], v[184:185], s[34:35], v[225:226]
	v_add_f64 v[108:109], v[108:109], v[176:177]
	v_add_f64 v[110:111], v[110:111], v[178:179]
	;; [unrolled: 1-line block ×3, first 2 shown]
	v_fma_f64 v[225:226], v[184:185], s[12:13], v[225:226]
	v_add_f64 v[236:237], v[180:181], v[236:237]
	v_fma_f64 v[240:241], v[184:185], s[38:39], v[238:239]
	v_add_f64 v[234:235], v[180:181], v[234:235]
	;; [unrolled: 2-line block ×3, first 2 shown]
	v_mul_f64 v[188:189], v[186:187], s[2:3]
	v_mul_f64 v[186:187], v[186:187], s[30:31]
	v_add_f64 v[248:249], v[110:111], v[190:191]
	v_fma_f64 v[108:109], v[194:195], s[16:17], v[229:230]
	v_mul_f64 v[110:111], v[196:197], s[16:17]
	v_fma_f64 v[229:230], v[194:195], s[16:17], -v[229:230]
	v_mul_f64 v[196:197], v[196:197], s[26:27]
	v_add_f64 v[216:217], v[182:183], v[216:217]
	v_fma_f64 v[190:191], v[194:195], s[0:1], v[188:189]
	v_fma_f64 v[188:189], v[194:195], s[0:1], -v[188:189]
	v_fma_f64 v[242:243], v[194:195], s[26:27], v[186:187]
	v_fma_f64 v[186:187], v[194:195], s[26:27], -v[186:187]
	v_add_f64 v[108:109], v[180:181], v[108:109]
	v_fma_f64 v[231:232], v[184:185], s[28:29], v[110:111]
	v_add_f64 v[229:230], v[180:181], v[229:230]
	v_fma_f64 v[110:111], v[184:185], s[18:19], v[110:111]
	v_add_f64 v[190:191], v[180:181], v[190:191]
	v_add_f64 v[188:189], v[180:181], v[188:189]
	v_add_f64 v[242:243], v[180:181], v[242:243]
	v_fma_f64 v[244:245], v[184:185], s[36:37], v[196:197]
	v_add_f64 v[180:181], v[180:181], v[186:187]
	v_fma_f64 v[184:185], v[184:185], s[30:31], v[196:197]
	v_add_f64 v[186:187], v[174:175], v[178:179]
	v_add_f64 v[174:175], v[174:175], -v[178:179]
	v_add_f64 v[198:199], v[182:183], v[198:199]
	v_add_f64 v[227:228], v[182:183], v[227:228]
	;; [unrolled: 1-line block ×10, first 2 shown]
	v_add_f64 v[172:173], v[172:173], -v[176:177]
	v_mul_f64 v[176:177], v[174:175], s[12:13]
	s_waitcnt lgkmcnt(0)
	; wave barrier
	s_waitcnt lgkmcnt(0)
	v_fma_f64 v[178:179], v[184:185], s[4:5], v[176:177]
	v_fma_f64 v[176:177], v[184:185], s[4:5], -v[176:177]
	v_add_f64 v[178:179], v[178:179], v[190:191]
	v_mul_f64 v[190:191], v[186:187], s[4:5]
	v_add_f64 v[176:177], v[176:177], v[188:189]
	v_fma_f64 v[194:195], v[172:173], s[34:35], v[190:191]
	v_fma_f64 v[188:189], v[172:173], s[12:13], v[190:191]
	v_mul_f64 v[190:191], v[174:175], s[22:23]
	v_add_f64 v[194:195], v[194:195], v[216:217]
	v_add_f64 v[188:189], v[188:189], v[198:199]
	v_fma_f64 v[196:197], v[184:185], s[20:21], v[190:191]
	v_fma_f64 v[190:191], v[184:185], s[20:21], -v[190:191]
	v_mul_f64 v[198:199], v[186:187], s[20:21]
	v_add_f64 v[196:197], v[196:197], v[220:221]
	v_add_f64 v[190:191], v[190:191], v[218:219]
	v_mul_f64 v[218:219], v[174:175], s[36:37]
	v_fma_f64 v[216:217], v[172:173], s[38:39], v[198:199]
	v_fma_f64 v[198:199], v[172:173], s[22:23], v[198:199]
	;; [unrolled: 1-line block ×3, first 2 shown]
	v_fma_f64 v[218:219], v[184:185], s[26:27], -v[218:219]
	v_add_f64 v[198:199], v[198:199], v[225:226]
	v_add_f64 v[216:217], v[216:217], v[227:228]
	;; [unrolled: 1-line block ×3, first 2 shown]
	v_mul_f64 v[220:221], v[186:187], s[26:27]
	v_add_f64 v[218:219], v[218:219], v[229:230]
	v_mul_f64 v[229:230], v[186:187], s[16:17]
	v_mul_f64 v[186:187], v[186:187], s[0:1]
	v_fma_f64 v[225:226], v[172:173], s[30:31], v[220:221]
	v_fma_f64 v[220:221], v[172:173], s[36:37], v[220:221]
	v_add_f64 v[225:226], v[225:226], v[231:232]
	v_add_f64 v[110:111], v[220:221], v[110:111]
	v_mul_f64 v[220:221], v[174:175], s[28:29]
	v_fma_f64 v[231:232], v[172:173], s[18:19], v[229:230]
	v_fma_f64 v[229:230], v[172:173], s[28:29], v[229:230]
	v_mul_f64 v[174:175], v[174:175], s[24:25]
	v_fma_f64 v[227:228], v[184:185], s[16:17], v[220:221]
	v_fma_f64 v[220:221], v[184:185], s[16:17], -v[220:221]
	v_add_f64 v[229:230], v[229:230], v[238:239]
	v_add_f64 v[231:232], v[231:232], v[240:241]
	;; [unrolled: 1-line block ×3, first 2 shown]
	v_fma_f64 v[236:237], v[172:173], s[2:3], v[186:187]
	v_fma_f64 v[172:173], v[172:173], s[24:25], v[186:187]
	v_add_f64 v[220:221], v[220:221], v[234:235]
	v_fma_f64 v[234:235], v[184:185], s[0:1], v[174:175]
	v_fma_f64 v[174:175], v[184:185], s[0:1], -v[174:175]
	v_add_f64 v[236:237], v[236:237], v[244:245]
	v_add_f64 v[172:173], v[172:173], v[182:183]
	;; [unrolled: 1-line block ×3, first 2 shown]
	v_add_f64 v[166:167], v[166:167], -v[170:171]
	v_add_f64 v[174:175], v[174:175], v[180:181]
	v_add_f64 v[180:181], v[164:165], v[168:169]
	v_add_f64 v[164:165], v[164:165], -v[168:169]
	v_add_f64 v[234:235], v[234:235], v[242:243]
	v_mul_f64 v[168:169], v[166:167], s[18:19]
	v_fma_f64 v[170:171], v[180:181], s[16:17], v[168:169]
	v_fma_f64 v[168:169], v[180:181], s[16:17], -v[168:169]
	v_add_f64 v[170:171], v[170:171], v[178:179]
	v_mul_f64 v[178:179], v[182:183], s[16:17]
	v_add_f64 v[168:169], v[168:169], v[176:177]
	v_fma_f64 v[184:185], v[164:165], s[28:29], v[178:179]
	v_fma_f64 v[176:177], v[164:165], s[18:19], v[178:179]
	v_mul_f64 v[178:179], v[166:167], s[36:37]
	v_add_f64 v[184:185], v[184:185], v[194:195]
	v_add_f64 v[176:177], v[176:177], v[188:189]
	v_fma_f64 v[186:187], v[180:181], s[26:27], v[178:179]
	v_fma_f64 v[178:179], v[180:181], s[26:27], -v[178:179]
	v_mul_f64 v[188:189], v[182:183], s[26:27]
	v_add_f64 v[186:187], v[186:187], v[196:197]
	v_add_f64 v[178:179], v[178:179], v[190:191]
	v_mul_f64 v[190:191], v[166:167], s[34:35]
	v_fma_f64 v[194:195], v[164:165], s[30:31], v[188:189]
	v_fma_f64 v[188:189], v[164:165], s[36:37], v[188:189]
	;; [unrolled: 1-line block ×3, first 2 shown]
	v_add_f64 v[194:195], v[194:195], v[216:217]
	v_add_f64 v[188:189], v[188:189], v[198:199]
	v_fma_f64 v[190:191], v[180:181], s[4:5], -v[190:191]
	v_add_f64 v[108:109], v[196:197], v[108:109]
	v_mul_f64 v[196:197], v[182:183], s[4:5]
	v_add_f64 v[190:191], v[190:191], v[218:219]
	v_mul_f64 v[218:219], v[182:183], s[0:1]
	v_mul_f64 v[182:183], v[182:183], s[20:21]
	v_fma_f64 v[198:199], v[164:165], s[12:13], v[196:197]
	v_fma_f64 v[196:197], v[164:165], s[34:35], v[196:197]
	v_add_f64 v[198:199], v[198:199], v[225:226]
	v_add_f64 v[110:111], v[196:197], v[110:111]
	v_mul_f64 v[196:197], v[166:167], s[2:3]
	v_mul_f64 v[166:167], v[166:167], s[22:23]
	v_fma_f64 v[225:226], v[164:165], s[24:25], v[218:219]
	v_fma_f64 v[218:219], v[164:165], s[2:3], v[218:219]
	;; [unrolled: 1-line block ×3, first 2 shown]
	v_fma_f64 v[196:197], v[180:181], s[0:1], -v[196:197]
	v_add_f64 v[225:226], v[225:226], v[231:232]
	v_add_f64 v[218:219], v[218:219], v[229:230]
	v_add_f64 v[231:232], v[148:149], -v[152:153]
	v_add_f64 v[229:230], v[150:151], v[154:155]
	v_add_f64 v[216:217], v[216:217], v[227:228]
	;; [unrolled: 1-line block ×3, first 2 shown]
	v_fma_f64 v[220:221], v[180:181], s[20:21], v[166:167]
	v_fma_f64 v[166:167], v[180:181], s[20:21], -v[166:167]
	v_fma_f64 v[227:228], v[164:165], s[38:39], v[182:183]
	v_fma_f64 v[164:165], v[164:165], s[22:23], v[182:183]
	v_add_f64 v[220:221], v[220:221], v[234:235]
	v_add_f64 v[166:167], v[166:167], v[174:175]
	;; [unrolled: 1-line block ×3, first 2 shown]
	v_add_f64 v[158:159], v[158:159], -v[162:163]
	v_add_f64 v[164:165], v[164:165], v[172:173]
	v_add_f64 v[172:173], v[156:157], v[160:161]
	v_add_f64 v[156:157], v[156:157], -v[160:161]
	v_add_f64 v[227:228], v[227:228], v[236:237]
	v_add_f64 v[234:235], v[150:151], -v[154:155]
	v_mul_f64 v[182:183], v[174:175], s[16:17]
	v_mul_f64 v[160:161], v[158:159], s[22:23]
	v_fma_f64 v[162:163], v[172:173], s[20:21], v[160:161]
	v_fma_f64 v[160:161], v[172:173], s[20:21], -v[160:161]
	v_add_f64 v[162:163], v[162:163], v[170:171]
	v_mul_f64 v[170:171], v[174:175], s[20:21]
	v_add_f64 v[160:161], v[160:161], v[168:169]
	v_fma_f64 v[180:181], v[156:157], s[38:39], v[170:171]
	v_fma_f64 v[168:169], v[156:157], s[22:23], v[170:171]
	v_mul_f64 v[170:171], v[158:159], s[28:29]
	v_add_f64 v[180:181], v[180:181], v[184:185]
	v_add_f64 v[168:169], v[168:169], v[176:177]
	v_fma_f64 v[176:177], v[172:173], s[16:17], v[170:171]
	v_fma_f64 v[170:171], v[172:173], s[16:17], -v[170:171]
	v_fma_f64 v[184:185], v[156:157], s[18:19], v[182:183]
	v_add_f64 v[176:177], v[176:177], v[186:187]
	v_add_f64 v[178:179], v[170:171], v[178:179]
	v_fma_f64 v[170:171], v[156:157], s[28:29], v[182:183]
	v_add_f64 v[184:185], v[184:185], v[194:195]
	v_mul_f64 v[194:195], v[174:175], s[26:27]
	v_add_f64 v[182:183], v[170:171], v[188:189]
	v_mul_f64 v[170:171], v[158:159], s[2:3]
	v_fma_f64 v[186:187], v[172:173], s[0:1], v[170:171]
	v_fma_f64 v[170:171], v[172:173], s[0:1], -v[170:171]
	v_add_f64 v[108:109], v[186:187], v[108:109]
	v_mul_f64 v[186:187], v[174:175], s[0:1]
	v_add_f64 v[190:191], v[170:171], v[190:191]
	v_fma_f64 v[170:171], v[156:157], s[2:3], v[186:187]
	v_fma_f64 v[188:189], v[156:157], s[24:25], v[186:187]
	v_add_f64 v[110:111], v[170:171], v[110:111]
	v_mul_f64 v[170:171], v[158:159], s[30:31]
	v_mul_f64 v[158:159], v[158:159], s[34:35]
	v_add_f64 v[188:189], v[188:189], v[198:199]
	v_fma_f64 v[198:199], v[156:157], s[36:37], v[194:195]
	v_fma_f64 v[186:187], v[172:173], s[26:27], v[170:171]
	v_fma_f64 v[170:171], v[172:173], s[26:27], -v[170:171]
	v_add_f64 v[198:199], v[198:199], v[225:226]
	v_add_f64 v[186:187], v[186:187], v[216:217]
	;; [unrolled: 1-line block ×3, first 2 shown]
	v_fma_f64 v[170:171], v[156:157], s[30:31], v[194:195]
	v_add_f64 v[194:195], v[170:171], v[218:219]
	v_fma_f64 v[170:171], v[172:173], s[4:5], v[158:159]
	v_fma_f64 v[158:159], v[172:173], s[4:5], -v[158:159]
	v_add_f64 v[216:217], v[170:171], v[220:221]
	v_mul_f64 v[170:171], v[174:175], s[4:5]
	v_add_f64 v[220:221], v[158:159], v[166:167]
	v_fma_f64 v[174:175], v[156:157], s[12:13], v[170:171]
	v_fma_f64 v[156:157], v[156:157], s[34:35], v[170:171]
	v_add_f64 v[218:219], v[174:175], v[227:228]
	v_add_f64 v[227:228], v[148:149], v[152:153]
	v_mul_f64 v[148:149], v[234:235], s[30:31]
	v_add_f64 v[225:226], v[156:157], v[164:165]
	v_mul_f64 v[156:157], v[234:235], s[24:25]
	v_fma_f64 v[150:151], v[227:228], s[26:27], v[148:149]
	v_fma_f64 v[148:149], v[227:228], s[26:27], -v[148:149]
	v_fma_f64 v[158:159], v[227:228], s[0:1], v[156:157]
	v_fma_f64 v[156:157], v[227:228], s[0:1], -v[156:157]
	v_add_f64 v[152:153], v[150:151], v[162:163]
	v_mul_f64 v[150:151], v[229:230], s[26:27]
	v_add_f64 v[148:149], v[148:149], v[160:161]
	v_add_f64 v[156:157], v[156:157], v[178:179]
	v_fma_f64 v[154:155], v[231:232], s[36:37], v[150:151]
	v_fma_f64 v[150:151], v[231:232], s[30:31], v[150:151]
	v_add_f64 v[154:155], v[154:155], v[180:181]
	v_add_f64 v[150:151], v[150:151], v[168:169]
	;; [unrolled: 1-line block ×3, first 2 shown]
	v_mul_f64 v[158:159], v[229:230], s[0:1]
	v_fma_f64 v[160:161], v[231:232], s[2:3], v[158:159]
	v_fma_f64 v[158:159], v[231:232], s[24:25], v[158:159]
	v_add_f64 v[170:171], v[160:161], v[184:185]
	v_mul_f64 v[160:161], v[234:235], s[22:23]
	v_add_f64 v[158:159], v[158:159], v[182:183]
	v_fma_f64 v[162:163], v[227:228], s[20:21], v[160:161]
	v_fma_f64 v[160:161], v[227:228], s[20:21], -v[160:161]
	v_add_f64 v[172:173], v[162:163], v[108:109]
	v_mul_f64 v[108:109], v[229:230], s[20:21]
	v_add_f64 v[160:161], v[160:161], v[190:191]
	v_fma_f64 v[162:163], v[231:232], s[38:39], v[108:109]
	v_fma_f64 v[108:109], v[231:232], s[22:23], v[108:109]
	v_add_f64 v[174:175], v[162:163], v[188:189]
	v_add_f64 v[162:163], v[108:109], v[110:111]
	v_mul_f64 v[108:109], v[234:235], s[34:35]
	v_fma_f64 v[110:111], v[227:228], s[4:5], v[108:109]
	v_fma_f64 v[108:109], v[227:228], s[4:5], -v[108:109]
	v_add_f64 v[176:177], v[110:111], v[186:187]
	v_mul_f64 v[110:111], v[229:230], s[4:5]
	v_fma_f64 v[164:165], v[231:232], s[12:13], v[110:111]
	v_add_f64 v[178:179], v[164:165], v[198:199]
	v_add_f64 v[164:165], v[108:109], v[196:197]
	v_fma_f64 v[108:109], v[231:232], s[34:35], v[110:111]
	v_add_f64 v[166:167], v[108:109], v[194:195]
	v_mul_f64 v[108:109], v[234:235], s[18:19]
	v_fma_f64 v[110:111], v[227:228], s[16:17], v[108:109]
	v_fma_f64 v[108:109], v[227:228], s[16:17], -v[108:109]
	v_add_f64 v[184:185], v[110:111], v[216:217]
	v_mul_f64 v[110:111], v[229:230], s[16:17]
	v_fma_f64 v[180:181], v[231:232], s[28:29], v[110:111]
	v_add_f64 v[186:187], v[180:181], v[218:219]
	v_add_f64 v[180:181], v[108:109], v[220:221]
	v_fma_f64 v[108:109], v[231:232], s[18:19], v[110:111]
	v_add_f64 v[110:111], v[138:139], v[142:143]
	v_add_f64 v[182:183], v[108:109], v[225:226]
	;; [unrolled: 1-line block ×21, first 2 shown]
	v_add_f64 v[142:143], v[142:143], -v[146:147]
	v_add_f64 v[188:189], v[108:109], v[144:145]
	v_add_f64 v[108:109], v[140:141], v[144:145]
	v_add_f64 v[140:141], v[140:141], -v[144:145]
	v_mul_f64 v[194:195], v[110:111], s[0:1]
	v_mul_f64 v[218:219], v[110:111], s[4:5]
	;; [unrolled: 1-line block ×8, first 2 shown]
	v_fma_f64 v[196:197], v[140:141], s[24:25], v[194:195]
	v_fma_f64 v[194:195], v[140:141], s[2:3], v[194:195]
	;; [unrolled: 1-line block ×6, first 2 shown]
	v_mul_f64 v[234:235], v[142:143], s[22:23]
	v_fma_f64 v[240:241], v[140:141], s[38:39], v[238:239]
	v_fma_f64 v[238:239], v[140:141], s[22:23], v[238:239]
	v_mul_f64 v[142:143], v[142:143], s[30:31]
	v_fma_f64 v[244:245], v[140:141], s[36:37], v[110:111]
	v_fma_f64 v[110:111], v[140:141], s[30:31], v[110:111]
	;; [unrolled: 1-line block ×3, first 2 shown]
	v_add_f64 v[196:197], v[138:139], v[196:197]
	v_fma_f64 v[144:145], v[108:109], s[0:1], -v[144:145]
	v_add_f64 v[194:195], v[138:139], v[194:195]
	v_fma_f64 v[216:217], v[108:109], s[4:5], v[198:199]
	v_add_f64 v[220:221], v[138:139], v[220:221]
	v_fma_f64 v[198:199], v[108:109], s[4:5], -v[198:199]
	v_add_f64 v[218:219], v[138:139], v[218:219]
	v_fma_f64 v[227:228], v[108:109], s[16:17], v[225:226]
	;; [unrolled: 4-line block ×4, first 2 shown]
	v_add_f64 v[244:245], v[138:139], v[244:245]
	v_fma_f64 v[108:109], v[108:109], s[26:27], -v[142:143]
	v_add_f64 v[110:111], v[138:139], v[110:111]
	v_add_f64 v[138:139], v[130:131], v[134:135]
	v_add_f64 v[130:131], v[130:131], -v[134:135]
	v_add_f64 v[146:147], v[136:137], v[146:147]
	v_add_f64 v[144:145], v[136:137], v[144:145]
	;; [unrolled: 1-line block ×11, first 2 shown]
	v_add_f64 v[128:129], v[128:129], -v[132:133]
	v_mul_f64 v[132:133], v[130:131], s[12:13]
	v_mul_f64 v[140:141], v[138:139], s[4:5]
	v_fma_f64 v[134:135], v[136:137], s[4:5], v[132:133]
	v_fma_f64 v[132:133], v[136:137], s[4:5], -v[132:133]
	v_fma_f64 v[142:143], v[128:129], s[34:35], v[140:141]
	v_fma_f64 v[140:141], v[128:129], s[12:13], v[140:141]
	v_add_f64 v[134:135], v[134:135], v[146:147]
	v_add_f64 v[132:133], v[132:133], v[144:145]
	v_mul_f64 v[144:145], v[130:131], s[22:23]
	v_add_f64 v[140:141], v[140:141], v[194:195]
	v_mul_f64 v[194:195], v[138:139], s[20:21]
	v_add_f64 v[142:143], v[142:143], v[196:197]
	v_fma_f64 v[146:147], v[136:137], s[20:21], v[144:145]
	v_fma_f64 v[144:145], v[136:137], s[20:21], -v[144:145]
	v_fma_f64 v[196:197], v[128:129], s[38:39], v[194:195]
	v_fma_f64 v[194:195], v[128:129], s[22:23], v[194:195]
	v_add_f64 v[146:147], v[146:147], v[216:217]
	v_add_f64 v[144:145], v[144:145], v[198:199]
	v_mul_f64 v[198:199], v[130:131], s[36:37]
	v_add_f64 v[194:195], v[194:195], v[218:219]
	v_mul_f64 v[218:219], v[138:139], s[26:27]
	v_add_f64 v[196:197], v[196:197], v[220:221]
	v_fma_f64 v[216:217], v[136:137], s[26:27], v[198:199]
	v_fma_f64 v[198:199], v[136:137], s[26:27], -v[198:199]
	v_fma_f64 v[220:221], v[128:129], s[30:31], v[218:219]
	v_fma_f64 v[218:219], v[128:129], s[36:37], v[218:219]
	v_add_f64 v[216:217], v[216:217], v[227:228]
	v_add_f64 v[198:199], v[198:199], v[225:226]
	v_mul_f64 v[225:226], v[130:131], s[28:29]
	v_mul_f64 v[130:131], v[130:131], s[24:25]
	v_add_f64 v[218:219], v[218:219], v[229:230]
	v_mul_f64 v[229:230], v[138:139], s[16:17]
	v_mul_f64 v[138:139], v[138:139], s[0:1]
	v_add_f64 v[220:221], v[220:221], v[231:232]
	v_fma_f64 v[227:228], v[136:137], s[16:17], v[225:226]
	v_fma_f64 v[225:226], v[136:137], s[16:17], -v[225:226]
	v_fma_f64 v[231:232], v[128:129], s[18:19], v[229:230]
	v_fma_f64 v[229:230], v[128:129], s[28:29], v[229:230]
	v_add_f64 v[227:228], v[227:228], v[236:237]
	v_add_f64 v[225:226], v[225:226], v[234:235]
	v_fma_f64 v[234:235], v[136:137], s[0:1], v[130:131]
	v_fma_f64 v[130:131], v[136:137], s[0:1], -v[130:131]
	v_fma_f64 v[236:237], v[128:129], s[2:3], v[138:139]
	v_fma_f64 v[128:129], v[128:129], s[24:25], v[138:139]
	v_add_f64 v[229:230], v[229:230], v[238:239]
	v_add_f64 v[231:232], v[231:232], v[240:241]
	;; [unrolled: 1-line block ×5, first 2 shown]
	v_add_f64 v[122:123], v[122:123], -v[126:127]
	v_add_f64 v[110:111], v[128:129], v[110:111]
	v_add_f64 v[128:129], v[120:121], v[124:125]
	v_add_f64 v[120:121], v[120:121], -v[124:125]
	v_add_f64 v[236:237], v[236:237], v[244:245]
	v_mul_f64 v[124:125], v[122:123], s[18:19]
	v_fma_f64 v[126:127], v[128:129], s[16:17], v[124:125]
	v_fma_f64 v[124:125], v[128:129], s[16:17], -v[124:125]
	v_add_f64 v[126:127], v[126:127], v[134:135]
	v_mul_f64 v[134:135], v[130:131], s[16:17]
	v_add_f64 v[124:125], v[124:125], v[132:133]
	v_fma_f64 v[136:137], v[120:121], s[28:29], v[134:135]
	v_fma_f64 v[132:133], v[120:121], s[18:19], v[134:135]
	v_mul_f64 v[134:135], v[122:123], s[36:37]
	v_add_f64 v[136:137], v[136:137], v[142:143]
	v_add_f64 v[132:133], v[132:133], v[140:141]
	v_fma_f64 v[138:139], v[128:129], s[26:27], v[134:135]
	v_fma_f64 v[134:135], v[128:129], s[26:27], -v[134:135]
	v_mul_f64 v[140:141], v[130:131], s[26:27]
	v_add_f64 v[138:139], v[138:139], v[146:147]
	v_add_f64 v[134:135], v[134:135], v[144:145]
	v_mul_f64 v[144:145], v[122:123], s[34:35]
	v_fma_f64 v[142:143], v[120:121], s[30:31], v[140:141]
	v_fma_f64 v[140:141], v[120:121], s[36:37], v[140:141]
	;; [unrolled: 1-line block ×3, first 2 shown]
	v_fma_f64 v[144:145], v[128:129], s[4:5], -v[144:145]
	v_add_f64 v[140:141], v[140:141], v[194:195]
	v_mul_f64 v[194:195], v[130:131], s[4:5]
	v_add_f64 v[142:143], v[142:143], v[196:197]
	v_add_f64 v[146:147], v[146:147], v[216:217]
	;; [unrolled: 1-line block ×3, first 2 shown]
	v_mul_f64 v[198:199], v[122:123], s[2:3]
	v_fma_f64 v[196:197], v[120:121], s[12:13], v[194:195]
	v_fma_f64 v[194:195], v[120:121], s[34:35], v[194:195]
	v_mul_f64 v[122:123], v[122:123], s[22:23]
	v_fma_f64 v[216:217], v[128:129], s[0:1], v[198:199]
	v_fma_f64 v[198:199], v[128:129], s[0:1], -v[198:199]
	v_add_f64 v[194:195], v[194:195], v[218:219]
	v_mul_f64 v[218:219], v[130:131], s[0:1]
	v_mul_f64 v[130:131], v[130:131], s[20:21]
	v_add_f64 v[196:197], v[196:197], v[220:221]
	v_add_f64 v[216:217], v[216:217], v[227:228]
	;; [unrolled: 1-line block ×3, first 2 shown]
	v_fma_f64 v[225:226], v[128:129], s[20:21], v[122:123]
	v_fma_f64 v[122:123], v[128:129], s[20:21], -v[122:123]
	v_fma_f64 v[220:221], v[120:121], s[24:25], v[218:219]
	v_fma_f64 v[218:219], v[120:121], s[2:3], v[218:219]
	;; [unrolled: 1-line block ×4, first 2 shown]
	v_add_f64 v[225:226], v[225:226], v[234:235]
	v_add_f64 v[108:109], v[122:123], v[108:109]
	v_add_f64 v[122:123], v[114:115], v[118:119]
	v_add_f64 v[114:115], v[114:115], -v[118:119]
	v_add_f64 v[227:228], v[227:228], v[236:237]
	v_add_f64 v[110:111], v[120:121], v[110:111]
	;; [unrolled: 1-line block ×3, first 2 shown]
	v_add_f64 v[112:113], v[112:113], -v[116:117]
	v_add_f64 v[218:219], v[218:219], v[229:230]
	v_add_f64 v[220:221], v[220:221], v[231:232]
	v_mul_f64 v[116:117], v[114:115], s[22:23]
	v_fma_f64 v[118:119], v[120:121], s[20:21], v[116:117]
	v_fma_f64 v[116:117], v[120:121], s[20:21], -v[116:117]
	v_add_f64 v[118:119], v[118:119], v[126:127]
	v_mul_f64 v[126:127], v[122:123], s[20:21]
	v_add_f64 v[116:117], v[116:117], v[124:125]
	v_fma_f64 v[128:129], v[112:113], s[38:39], v[126:127]
	v_fma_f64 v[124:125], v[112:113], s[22:23], v[126:127]
	v_mul_f64 v[126:127], v[114:115], s[28:29]
	v_add_f64 v[128:129], v[128:129], v[136:137]
	v_add_f64 v[124:125], v[124:125], v[132:133]
	v_fma_f64 v[130:131], v[120:121], s[16:17], v[126:127]
	v_mul_f64 v[132:133], v[122:123], s[16:17]
	v_fma_f64 v[126:127], v[120:121], s[16:17], -v[126:127]
	v_add_f64 v[130:131], v[130:131], v[138:139]
	v_fma_f64 v[136:137], v[112:113], s[18:19], v[132:133]
	v_add_f64 v[126:127], v[126:127], v[134:135]
	v_fma_f64 v[132:133], v[112:113], s[28:29], v[132:133]
	v_mul_f64 v[134:135], v[114:115], s[2:3]
	v_add_f64 v[136:137], v[136:137], v[142:143]
	v_add_f64 v[132:133], v[132:133], v[140:141]
	v_fma_f64 v[138:139], v[120:121], s[0:1], v[134:135]
	v_mul_f64 v[140:141], v[122:123], s[0:1]
	v_fma_f64 v[134:135], v[120:121], s[0:1], -v[134:135]
	v_add_f64 v[138:139], v[138:139], v[146:147]
	v_fma_f64 v[142:143], v[112:113], s[24:25], v[140:141]
	v_add_f64 v[134:135], v[134:135], v[144:145]
	v_fma_f64 v[140:141], v[112:113], s[2:3], v[140:141]
	v_mul_f64 v[144:145], v[114:115], s[30:31]
	v_mul_f64 v[114:115], v[114:115], s[34:35]
	v_add_f64 v[142:143], v[142:143], v[196:197]
	v_add_f64 v[140:141], v[140:141], v[194:195]
	v_fma_f64 v[146:147], v[120:121], s[26:27], v[144:145]
	v_mul_f64 v[194:195], v[122:123], s[26:27]
	v_mul_f64 v[122:123], v[122:123], s[4:5]
	v_fma_f64 v[144:145], v[120:121], s[26:27], -v[144:145]
	v_add_f64 v[146:147], v[146:147], v[216:217]
	v_fma_f64 v[196:197], v[112:113], s[36:37], v[194:195]
	v_fma_f64 v[216:217], v[112:113], s[12:13], v[122:123]
	v_add_f64 v[144:145], v[144:145], v[198:199]
	v_fma_f64 v[194:195], v[112:113], s[30:31], v[194:195]
	v_fma_f64 v[198:199], v[120:121], s[4:5], v[114:115]
	;; [unrolled: 1-line block ×3, first 2 shown]
	v_fma_f64 v[114:115], v[120:121], s[4:5], -v[114:115]
	v_add_f64 v[196:197], v[196:197], v[220:221]
	v_add_f64 v[216:217], v[216:217], v[227:228]
	v_add_f64 v[227:228], v[102:103], -v[106:107]
	v_add_f64 v[194:195], v[194:195], v[218:219]
	v_add_f64 v[198:199], v[198:199], v[225:226]
	;; [unrolled: 1-line block ×3, first 2 shown]
	v_add_f64 v[225:226], v[100:101], -v[104:105]
	v_add_f64 v[220:221], v[102:103], v[106:107]
	v_add_f64 v[110:111], v[112:113], v[110:111]
	;; [unrolled: 1-line block ×3, first 2 shown]
	v_mul_f64 v[104:105], v[227:228], s[30:31]
	v_mul_f64 v[106:107], v[220:221], s[26:27]
	v_fma_f64 v[100:101], v[218:219], s[26:27], v[104:105]
	v_fma_f64 v[104:105], v[218:219], s[26:27], -v[104:105]
	v_fma_f64 v[102:103], v[225:226], s[36:37], v[106:107]
	v_fma_f64 v[106:107], v[225:226], s[30:31], v[106:107]
	v_add_f64 v[100:101], v[100:101], v[118:119]
	v_add_f64 v[104:105], v[104:105], v[116:117]
	v_mul_f64 v[116:117], v[227:228], s[24:25]
	v_mul_f64 v[118:119], v[220:221], s[0:1]
	v_add_f64 v[102:103], v[102:103], v[128:129]
	v_add_f64 v[106:107], v[106:107], v[124:125]
	v_mul_f64 v[124:125], v[227:228], s[22:23]
	v_fma_f64 v[112:113], v[218:219], s[0:1], v[116:117]
	v_fma_f64 v[116:117], v[218:219], s[0:1], -v[116:117]
	v_fma_f64 v[114:115], v[225:226], s[2:3], v[118:119]
	v_fma_f64 v[118:119], v[225:226], s[24:25], v[118:119]
	v_fma_f64 v[120:121], v[218:219], s[20:21], v[124:125]
	v_fma_f64 v[124:125], v[218:219], s[20:21], -v[124:125]
	v_add_f64 v[112:113], v[112:113], v[130:131]
	v_add_f64 v[116:117], v[116:117], v[126:127]
	v_mul_f64 v[126:127], v[220:221], s[20:21]
	v_add_f64 v[114:115], v[114:115], v[136:137]
	v_add_f64 v[118:119], v[118:119], v[132:133]
	v_mul_f64 v[132:133], v[227:228], s[34:35]
	v_add_f64 v[124:125], v[124:125], v[134:135]
	v_mul_f64 v[134:135], v[220:221], s[4:5]
	v_add_f64 v[120:121], v[120:121], v[138:139]
	v_fma_f64 v[122:123], v[225:226], s[38:39], v[126:127]
	v_fma_f64 v[126:127], v[225:226], s[22:23], v[126:127]
	;; [unrolled: 1-line block ×3, first 2 shown]
	v_fma_f64 v[132:133], v[218:219], s[4:5], -v[132:133]
	v_fma_f64 v[130:131], v[225:226], s[12:13], v[134:135]
	v_fma_f64 v[134:135], v[225:226], s[34:35], v[134:135]
	v_add_f64 v[122:123], v[122:123], v[142:143]
	v_add_f64 v[126:127], v[126:127], v[140:141]
	v_mul_f64 v[140:141], v[227:228], s[18:19]
	v_mul_f64 v[142:143], v[220:221], s[16:17]
	v_add_f64 v[128:129], v[128:129], v[146:147]
	v_add_f64 v[130:131], v[130:131], v[196:197]
	;; [unrolled: 1-line block ×4, first 2 shown]
	v_fma_f64 v[136:137], v[218:219], s[16:17], v[140:141]
	v_fma_f64 v[140:141], v[218:219], s[16:17], -v[140:141]
	v_fma_f64 v[138:139], v[225:226], s[28:29], v[142:143]
	v_add_f64 v[136:137], v[136:137], v[198:199]
	v_add_f64 v[140:141], v[140:141], v[108:109]
	v_fma_f64 v[108:109], v[225:226], s[18:19], v[142:143]
	v_add_f64 v[138:139], v[138:139], v[216:217]
	v_add_f64 v[142:143], v[108:109], v[110:111]
	ds_write_b128 v222, v[246:249]
	ds_write_b128 v222, v[152:155] offset:16
	ds_write_b128 v222, v[168:171] offset:32
	;; [unrolled: 1-line block ×10, first 2 shown]
	ds_write_b128 v224, v[188:191]
	ds_write_b128 v224, v[100:103] offset:16
	ds_write_b128 v224, v[112:115] offset:32
	;; [unrolled: 1-line block ×10, first 2 shown]
	s_and_saveexec_b64 s[38:39], vcc
	s_cbranch_execz .LBB0_13
; %bb.12:
	buffer_load_dword v216, off, s[40:43], 0 ; 4-byte Folded Reload
	buffer_load_dword v217, off, s[40:43], 0 offset:4 ; 4-byte Folded Reload
	buffer_load_dword v218, off, s[40:43], 0 offset:8 ; 4-byte Folded Reload
	;; [unrolled: 1-line block ×3, first 2 shown]
	v_mov_b32_e32 v198, v250
	v_mov_b32_e32 v199, v251
	;; [unrolled: 1-line block ×4, first 2 shown]
	buffer_load_dword v250, off, s[40:43], 0 offset:112 ; 4-byte Folded Reload
	buffer_load_dword v251, off, s[40:43], 0 offset:116 ; 4-byte Folded Reload
	;; [unrolled: 1-line block ×28, first 2 shown]
	s_waitcnt vmcnt(30)
	v_add_f64 v[128:129], v[96:97], -v[216:217]
	s_waitcnt vmcnt(28)
	v_add_f64 v[136:137], v[98:99], -v[218:219]
	v_add_f64 v[138:139], v[98:99], v[218:219]
	v_add_f64 v[148:149], v[96:97], v[216:217]
	;; [unrolled: 1-line block ×3, first 2 shown]
	s_waitcnt vmcnt(20)
	v_add_f64 v[150:151], v[248:249], -v[252:253]
	s_waitcnt vmcnt(12)
	v_add_f64 v[156:157], v[236:237], -v[244:245]
	;; [unrolled: 2-line block ×3, first 2 shown]
	v_mul_f64 v[104:105], v[128:129], s[30:31]
	s_waitcnt vmcnt(8)
	v_add_f64 v[146:147], v[94:95], -v[230:231]
	v_mul_f64 v[106:107], v[136:137], s[30:31]
	s_waitcnt vmcnt(2)
	v_add_f64 v[140:141], v[224:225], -v[238:239]
	v_add_f64 v[144:145], v[94:95], v[230:231]
	s_waitcnt vmcnt(0)
	v_add_f64 v[152:153], v[226:227], -v[240:241]
	v_add_f64 v[154:155], v[92:93], v[228:229]
	v_mul_f64 v[108:109], v[134:135], s[24:25]
	v_fma_f64 v[110:111], v[138:139], s[26:27], v[104:105]
	v_mul_f64 v[114:115], v[146:147], s[24:25]
	v_fma_f64 v[116:117], v[148:149], s[26:27], -v[106:107]
	v_add_f64 v[142:143], v[226:227], v[240:241]
	v_mul_f64 v[112:113], v[140:141], s[22:23]
	v_add_f64 v[158:159], v[224:225], v[238:239]
	v_mul_f64 v[122:123], v[152:153], s[22:23]
	v_fma_f64 v[118:119], v[144:145], s[0:1], v[108:109]
	v_add_f64 v[110:111], v[90:91], v[110:111]
	v_fma_f64 v[124:125], v[154:155], s[0:1], -v[114:115]
	v_add_f64 v[116:117], v[88:89], v[116:117]
	v_add_f64 v[132:133], v[234:235], -v[242:243]
	v_fma_f64 v[126:127], v[142:143], s[20:21], v[112:113]
	v_add_f64 v[160:161], v[234:235], v[242:243]
	v_mul_f64 v[162:163], v[156:157], s[34:35]
	v_fma_f64 v[104:105], v[138:139], s[26:27], -v[104:105]
	v_add_f64 v[110:111], v[118:119], v[110:111]
	v_fma_f64 v[164:165], v[158:159], s[20:21], -v[122:123]
	v_add_f64 v[116:117], v[124:125], v[116:117]
	v_add_f64 v[130:131], v[246:247], -v[250:251]
	v_add_f64 v[102:103], v[236:237], v[244:245]
	v_mul_f64 v[120:121], v[132:133], s[34:35]
	v_add_f64 v[166:167], v[246:247], v[250:251]
	v_fma_f64 v[108:109], v[144:145], s[0:1], -v[108:109]
	v_add_f64 v[110:111], v[126:127], v[110:111]
	v_mul_f64 v[126:127], v[150:151], s[18:19]
	v_add_f64 v[104:105], v[90:91], v[104:105]
	v_fma_f64 v[168:169], v[160:161], s[4:5], -v[162:163]
	v_add_f64 v[116:117], v[164:165], v[116:117]
	v_add_f64 v[100:101], v[248:249], v[252:253]
	v_mul_f64 v[118:119], v[130:131], s[18:19]
	v_fma_f64 v[124:125], v[102:103], s[4:5], v[120:121]
	v_fma_f64 v[112:113], v[142:143], s[20:21], -v[112:113]
	v_fma_f64 v[106:107], v[148:149], s[26:27], v[106:107]
	v_add_f64 v[104:105], v[108:109], v[104:105]
	v_fma_f64 v[108:109], v[166:167], s[16:17], -v[126:127]
	v_add_f64 v[116:117], v[168:169], v[116:117]
	v_fma_f64 v[114:115], v[154:155], s[0:1], v[114:115]
	v_fma_f64 v[164:165], v[100:101], s[16:17], v[118:119]
	v_add_f64 v[110:111], v[124:125], v[110:111]
	v_fma_f64 v[120:121], v[102:103], s[4:5], -v[120:121]
	v_add_f64 v[124:125], v[88:89], v[106:107]
	v_add_f64 v[112:113], v[112:113], v[104:105]
	v_mul_f64 v[170:171], v[152:153], s[2:3]
	v_add_f64 v[104:105], v[108:109], v[116:117]
	v_mul_f64 v[108:109], v[128:129], s[22:23]
	v_fma_f64 v[116:117], v[158:159], s[20:21], v[122:123]
	v_add_f64 v[106:107], v[164:165], v[110:111]
	v_fma_f64 v[110:111], v[100:101], s[16:17], -v[118:119]
	v_mul_f64 v[118:119], v[136:137], s[22:23]
	v_add_f64 v[114:115], v[114:115], v[124:125]
	v_mul_f64 v[122:123], v[134:135], s[28:29]
	v_add_f64 v[112:113], v[120:121], v[112:113]
	v_fma_f64 v[124:125], v[138:139], s[20:21], v[108:109]
	v_fma_f64 v[120:121], v[166:167], s[16:17], v[126:127]
	;; [unrolled: 1-line block ×3, first 2 shown]
	v_mul_f64 v[162:163], v[146:147], s[28:29]
	v_fma_f64 v[164:165], v[148:149], s[20:21], -v[118:119]
	v_add_f64 v[114:115], v[116:117], v[114:115]
	v_fma_f64 v[108:109], v[138:139], s[20:21], -v[108:109]
	v_mul_f64 v[116:117], v[140:141], s[2:3]
	v_fma_f64 v[168:169], v[144:145], s[16:17], v[122:123]
	v_add_f64 v[124:125], v[90:91], v[124:125]
	v_fma_f64 v[122:123], v[144:145], s[16:17], -v[122:123]
	v_fma_f64 v[172:173], v[154:155], s[16:17], -v[162:163]
	v_add_f64 v[164:165], v[88:89], v[164:165]
	v_mul_f64 v[174:175], v[132:133], s[30:31]
	v_add_f64 v[108:109], v[90:91], v[108:109]
	v_fma_f64 v[176:177], v[142:143], s[0:1], v[116:117]
	v_fma_f64 v[178:179], v[158:159], s[0:1], -v[170:171]
	v_add_f64 v[124:125], v[168:169], v[124:125]
	v_mul_f64 v[168:169], v[156:157], s[30:31]
	v_fma_f64 v[116:117], v[142:143], s[0:1], -v[116:117]
	v_add_f64 v[164:165], v[172:173], v[164:165]
	v_fma_f64 v[172:173], v[102:103], s[26:27], v[174:175]
	v_add_f64 v[108:109], v[122:123], v[108:109]
	v_mul_f64 v[122:123], v[130:131], s[34:35]
	v_fma_f64 v[174:175], v[102:103], s[26:27], -v[174:175]
	v_add_f64 v[124:125], v[176:177], v[124:125]
	v_mul_f64 v[176:177], v[150:151], s[34:35]
	v_fma_f64 v[180:181], v[160:161], s[26:27], -v[168:169]
	v_add_f64 v[164:165], v[178:179], v[164:165]
	v_add_f64 v[114:115], v[126:127], v[114:115]
	;; [unrolled: 1-line block ×3, first 2 shown]
	v_fma_f64 v[116:117], v[100:101], s[4:5], v[122:123]
	v_fma_f64 v[118:119], v[148:149], s[20:21], v[118:119]
	v_add_f64 v[124:125], v[172:173], v[124:125]
	v_fma_f64 v[126:127], v[166:167], s[4:5], -v[176:177]
	v_fma_f64 v[122:123], v[100:101], s[4:5], -v[122:123]
	v_add_f64 v[164:165], v[180:181], v[164:165]
	v_add_f64 v[110:111], v[110:111], v[112:113]
	;; [unrolled: 1-line block ×4, first 2 shown]
	v_fma_f64 v[120:121], v[154:155], s[16:17], v[162:163]
	v_mul_f64 v[162:163], v[128:129], s[18:19]
	v_add_f64 v[174:175], v[88:89], v[118:119]
	v_add_f64 v[114:115], v[116:117], v[124:125]
	v_mul_f64 v[116:117], v[136:137], s[18:19]
	v_add_f64 v[112:113], v[126:127], v[164:165]
	v_add_f64 v[118:119], v[122:123], v[172:173]
	v_fma_f64 v[122:123], v[158:159], s[0:1], v[170:171]
	v_mul_f64 v[124:125], v[134:135], s[36:37]
	v_fma_f64 v[126:127], v[138:139], s[16:17], v[162:163]
	v_add_f64 v[120:121], v[120:121], v[174:175]
	v_mul_f64 v[170:171], v[146:147], s[36:37]
	v_fma_f64 v[172:173], v[148:149], s[16:17], -v[116:117]
	v_fma_f64 v[164:165], v[166:167], s[4:5], v[176:177]
	v_mul_f64 v[174:175], v[140:141], s[34:35]
	v_mul_f64 v[178:179], v[152:153], s[34:35]
	v_fma_f64 v[176:177], v[144:145], s[26:27], v[124:125]
	v_add_f64 v[126:127], v[90:91], v[126:127]
	v_add_f64 v[120:121], v[122:123], v[120:121]
	v_fma_f64 v[122:123], v[138:139], s[16:17], -v[162:163]
	v_fma_f64 v[162:163], v[154:155], s[26:27], -v[170:171]
	v_add_f64 v[172:173], v[88:89], v[172:173]
	v_fma_f64 v[168:169], v[160:161], s[26:27], v[168:169]
	v_fma_f64 v[182:183], v[142:143], s[4:5], v[174:175]
	v_fma_f64 v[124:125], v[144:145], s[26:27], -v[124:125]
	v_add_f64 v[126:127], v[176:177], v[126:127]
	v_mul_f64 v[176:177], v[156:157], s[2:3]
	v_add_f64 v[122:123], v[90:91], v[122:123]
	v_fma_f64 v[184:185], v[158:159], s[4:5], -v[178:179]
	v_add_f64 v[162:163], v[162:163], v[172:173]
	v_mul_f64 v[180:181], v[132:133], s[2:3]
	v_mul_f64 v[172:173], v[130:131], s[22:23]
	v_fma_f64 v[174:175], v[142:143], s[4:5], -v[174:175]
	v_add_f64 v[126:127], v[182:183], v[126:127]
	v_mul_f64 v[182:183], v[150:151], s[22:23]
	v_add_f64 v[122:123], v[124:125], v[122:123]
	v_fma_f64 v[124:125], v[160:161], s[0:1], -v[176:177]
	v_add_f64 v[162:163], v[184:185], v[162:163]
	v_add_f64 v[120:121], v[168:169], v[120:121]
	v_fma_f64 v[184:185], v[148:149], s[16:17], v[116:117]
	v_fma_f64 v[186:187], v[102:103], s[0:1], v[180:181]
	;; [unrolled: 1-line block ×3, first 2 shown]
	v_fma_f64 v[180:181], v[102:103], s[0:1], -v[180:181]
	v_add_f64 v[122:123], v[174:175], v[122:123]
	v_fma_f64 v[174:175], v[166:167], s[20:21], -v[182:183]
	v_add_f64 v[124:125], v[124:125], v[162:163]
	v_add_f64 v[116:117], v[164:165], v[120:121]
	v_fma_f64 v[162:163], v[100:101], s[20:21], -v[172:173]
	v_fma_f64 v[164:165], v[154:155], s[26:27], v[170:171]
	v_add_f64 v[172:173], v[88:89], v[184:185]
	v_add_f64 v[126:127], v[186:187], v[126:127]
	;; [unrolled: 1-line block ×3, first 2 shown]
	v_mul_f64 v[170:171], v[128:129], s[12:13]
	v_add_f64 v[120:121], v[174:175], v[124:125]
	v_fma_f64 v[124:125], v[158:159], s[4:5], v[178:179]
	v_mul_f64 v[174:175], v[134:135], s[22:23]
	v_mul_f64 v[188:189], v[132:133], s[28:29]
	v_add_f64 v[164:165], v[164:165], v[172:173]
	v_add_f64 v[122:123], v[168:169], v[126:127]
	v_mul_f64 v[168:169], v[136:137], s[12:13]
	v_add_f64 v[126:127], v[162:163], v[180:181]
	v_fma_f64 v[162:163], v[160:161], s[0:1], v[176:177]
	v_fma_f64 v[178:179], v[138:139], s[4:5], v[170:171]
	v_mul_f64 v[172:173], v[146:147], s[22:23]
	v_mul_f64 v[180:181], v[140:141], s[36:37]
	v_add_f64 v[124:125], v[124:125], v[164:165]
	v_fma_f64 v[184:185], v[144:145], s[20:21], v[174:175]
	v_fma_f64 v[176:177], v[148:149], s[4:5], -v[168:169]
	v_fma_f64 v[164:165], v[166:167], s[20:21], v[182:183]
	v_mul_f64 v[182:183], v[152:153], s[36:37]
	v_add_f64 v[178:179], v[90:91], v[178:179]
	v_fma_f64 v[186:187], v[154:155], s[20:21], -v[172:173]
	v_fma_f64 v[174:175], v[144:145], s[20:21], -v[174:175]
	v_add_f64 v[124:125], v[162:163], v[124:125]
	v_fma_f64 v[162:163], v[138:139], s[4:5], -v[170:171]
	v_add_f64 v[176:177], v[88:89], v[176:177]
	v_fma_f64 v[190:191], v[142:143], s[26:27], v[180:181]
	v_fma_f64 v[180:181], v[142:143], s[26:27], -v[180:181]
	v_add_f64 v[178:179], v[184:185], v[178:179]
	v_fma_f64 v[184:185], v[158:159], s[26:27], -v[182:183]
	v_fma_f64 v[168:169], v[148:149], s[4:5], v[168:169]
	v_mul_f64 v[128:129], v[128:129], s[2:3]
	v_add_f64 v[162:163], v[90:91], v[162:163]
	v_add_f64 v[176:177], v[186:187], v[176:177]
	v_mul_f64 v[186:187], v[130:131], s[24:25]
	v_mul_f64 v[136:137], v[136:137], s[2:3]
	v_add_f64 v[124:125], v[164:165], v[124:125]
	v_fma_f64 v[172:173], v[154:155], s[20:21], v[172:173]
	v_add_f64 v[168:169], v[88:89], v[168:169]
	v_mul_f64 v[134:135], v[134:135], s[12:13]
	v_add_f64 v[162:163], v[174:175], v[162:163]
	v_add_f64 v[176:177], v[184:185], v[176:177]
	v_fma_f64 v[164:165], v[100:101], s[0:1], v[186:187]
	v_fma_f64 v[184:185], v[102:103], s[16:17], -v[188:189]
	v_mul_f64 v[170:171], v[156:157], s[28:29]
	v_add_f64 v[96:97], v[88:89], v[96:97]
	v_fma_f64 v[182:183], v[158:159], s[26:27], v[182:183]
	v_add_f64 v[168:169], v[172:173], v[168:169]
	v_add_f64 v[162:163], v[180:181], v[162:163]
	v_fma_f64 v[180:181], v[100:101], s[0:1], -v[186:187]
	v_fma_f64 v[186:187], v[138:139], s[0:1], v[128:129]
	v_fma_f64 v[128:129], v[138:139], s[0:1], -v[128:129]
	v_mul_f64 v[138:139], v[146:147], s[12:13]
	v_fma_f64 v[146:147], v[148:149], s[0:1], v[136:137]
	v_fma_f64 v[136:137], v[148:149], s[0:1], -v[136:137]
	v_mul_f64 v[140:141], v[140:141], s[18:19]
	v_add_f64 v[162:163], v[184:185], v[162:163]
	v_add_f64 v[94:95], v[98:99], v[94:95]
	v_fma_f64 v[98:99], v[144:145], s[4:5], v[134:135]
	v_add_f64 v[172:173], v[90:91], v[186:187]
	v_mul_f64 v[152:153], v[152:153], s[18:19]
	v_fma_f64 v[134:135], v[144:145], s[4:5], -v[134:135]
	v_add_f64 v[90:91], v[90:91], v[128:129]
	v_fma_f64 v[128:129], v[154:155], s[4:5], v[138:139]
	v_add_f64 v[144:145], v[88:89], v[146:147]
	v_fma_f64 v[138:139], v[154:155], s[4:5], -v[138:139]
	v_add_f64 v[88:89], v[88:89], v[136:137]
	v_fma_f64 v[196:197], v[160:161], s[16:17], -v[170:171]
	v_add_f64 v[96:97], v[96:97], v[92:93]
	v_fma_f64 v[170:171], v[160:161], s[16:17], v[170:171]
	v_add_f64 v[168:169], v[182:183], v[168:169]
	v_add_f64 v[92:93], v[180:181], v[162:163]
	v_mul_f64 v[132:133], v[132:133], s[22:23]
	v_fma_f64 v[162:163], v[142:143], s[16:17], v[140:141]
	v_add_f64 v[98:99], v[98:99], v[172:173]
	v_mul_f64 v[156:157], v[156:157], s[22:23]
	v_fma_f64 v[136:137], v[142:143], s[16:17], -v[140:141]
	v_add_f64 v[90:91], v[134:135], v[90:91]
	v_fma_f64 v[134:135], v[158:159], s[16:17], v[152:153]
	v_add_f64 v[128:129], v[128:129], v[144:145]
	v_fma_f64 v[140:141], v[158:159], s[16:17], -v[152:153]
	v_add_f64 v[88:89], v[138:139], v[88:89]
	v_fma_f64 v[194:195], v[102:103], s[16:17], v[188:189]
	v_add_f64 v[178:179], v[190:191], v[178:179]
	v_mul_f64 v[190:191], v[150:151], s[24:25]
	v_add_f64 v[168:169], v[170:171], v[168:169]
	v_mul_f64 v[130:131], v[130:131], s[30:31]
	v_fma_f64 v[170:171], v[102:103], s[20:21], v[132:133]
	v_add_f64 v[98:99], v[162:163], v[98:99]
	v_mul_f64 v[150:151], v[150:151], s[30:31]
	v_fma_f64 v[102:103], v[102:103], s[20:21], -v[132:133]
	v_fma_f64 v[132:133], v[160:161], s[20:21], v[156:157]
	v_add_f64 v[128:129], v[134:135], v[128:129]
	v_fma_f64 v[134:135], v[160:161], s[20:21], -v[156:157]
	v_add_f64 v[88:89], v[140:141], v[88:89]
	v_add_f64 v[94:95], v[94:95], v[226:227]
	;; [unrolled: 1-line block ×3, first 2 shown]
	v_fma_f64 v[142:143], v[166:167], s[26:27], -v[150:151]
	v_add_f64 v[96:97], v[96:97], v[224:225]
	v_add_f64 v[90:91], v[136:137], v[90:91]
	;; [unrolled: 1-line block ×3, first 2 shown]
	v_fma_f64 v[132:133], v[100:101], s[26:27], v[130:131]
	v_add_f64 v[88:89], v[134:135], v[88:89]
	v_add_f64 v[94:95], v[94:95], v[236:237]
	v_fma_f64 v[136:137], v[100:101], s[26:27], -v[130:131]
	v_fma_f64 v[172:173], v[166:167], s[0:1], v[190:191]
	v_add_f64 v[96:97], v[96:97], v[234:235]
	v_add_f64 v[90:91], v[102:103], v[90:91]
	v_fma_f64 v[102:103], v[166:167], s[26:27], v[150:151]
	v_add_f64 v[134:135], v[132:133], v[140:141]
	v_add_f64 v[132:133], v[142:143], v[88:89]
	buffer_load_dword v88, off, s[40:43], 0 offset:972 ; 4-byte Folded Reload
	v_add_f64 v[94:95], v[94:95], v[248:249]
	v_add_f64 v[174:175], v[194:195], v[178:179]
	v_add_f64 v[96:97], v[96:97], v[246:247]
	v_fma_f64 v[178:179], v[166:167], s[0:1], -v[190:191]
	v_add_f64 v[176:177], v[196:197], v[176:177]
	v_add_f64 v[94:95], v[94:95], v[252:253]
	v_mov_b32_e32 v253, v221
	v_add_f64 v[96:97], v[96:97], v[250:251]
	v_mov_b32_e32 v252, v220
	v_mov_b32_e32 v251, v199
	;; [unrolled: 1-line block ×3, first 2 shown]
	v_add_f64 v[130:131], v[164:165], v[174:175]
	v_add_f64 v[94:95], v[94:95], v[244:245]
	;; [unrolled: 1-line block ×13, first 2 shown]
	s_waitcnt vmcnt(0)
	v_lshlrev_b32_e32 v88, 4, v88
	ds_write_b128 v88, v[98:101]
	ds_write_b128 v88, v[94:97] offset:16
	ds_write_b128 v88, v[90:93] offset:32
	;; [unrolled: 1-line block ×10, first 2 shown]
.LBB0_13:
	s_or_b64 exec, exec, s[38:39]
	s_waitcnt lgkmcnt(0)
	; wave barrier
	s_waitcnt lgkmcnt(0)
	ds_read_b128 v[88:91], v223 offset:4400
	buffer_load_dword v94, off, s[40:43], 0 offset:528 ; 4-byte Folded Reload
	buffer_load_dword v95, off, s[40:43], 0 offset:532 ; 4-byte Folded Reload
	;; [unrolled: 1-line block ×4, first 2 shown]
	s_mov_b32 s16, 0x134454ff
	s_mov_b32 s17, 0xbfee6f0e
	;; [unrolled: 1-line block ×10, first 2 shown]
	s_waitcnt vmcnt(0) lgkmcnt(0)
	v_mul_f64 v[92:93], v[96:97], v[90:91]
	v_fma_f64 v[92:93], v[94:95], v[88:89], v[92:93]
	v_mul_f64 v[88:89], v[96:97], v[88:89]
	v_fma_f64 v[94:95], v[94:95], v[90:91], -v[88:89]
	ds_read_b128 v[88:91], v223 offset:8800
	buffer_load_dword v98, off, s[40:43], 0 offset:512 ; 4-byte Folded Reload
	buffer_load_dword v99, off, s[40:43], 0 offset:516 ; 4-byte Folded Reload
	;; [unrolled: 1-line block ×4, first 2 shown]
	s_waitcnt vmcnt(0) lgkmcnt(0)
	v_mul_f64 v[96:97], v[100:101], v[90:91]
	v_fma_f64 v[168:169], v[98:99], v[88:89], v[96:97]
	v_mul_f64 v[88:89], v[100:101], v[88:89]
	v_fma_f64 v[172:173], v[98:99], v[90:91], -v[88:89]
	ds_read_b128 v[88:91], v223 offset:13200
	buffer_load_dword v98, off, s[40:43], 0 offset:496 ; 4-byte Folded Reload
	buffer_load_dword v99, off, s[40:43], 0 offset:500 ; 4-byte Folded Reload
	buffer_load_dword v100, off, s[40:43], 0 offset:504 ; 4-byte Folded Reload
	buffer_load_dword v101, off, s[40:43], 0 offset:508 ; 4-byte Folded Reload
	s_waitcnt vmcnt(0) lgkmcnt(0)
	v_mul_f64 v[96:97], v[100:101], v[90:91]
	v_fma_f64 v[170:171], v[98:99], v[88:89], v[96:97]
	v_mul_f64 v[88:89], v[100:101], v[88:89]
	v_add_f64 v[190:191], v[168:169], -v[170:171]
	v_fma_f64 v[174:175], v[98:99], v[90:91], -v[88:89]
	ds_read_b128 v[88:91], v223 offset:17600
	buffer_load_dword v98, off, s[40:43], 0 offset:480 ; 4-byte Folded Reload
	buffer_load_dword v99, off, s[40:43], 0 offset:484 ; 4-byte Folded Reload
	;; [unrolled: 1-line block ×4, first 2 shown]
	v_add_f64 v[184:185], v[172:173], -v[174:175]
	s_waitcnt vmcnt(0) lgkmcnt(0)
	v_mul_f64 v[96:97], v[100:101], v[90:91]
	v_fma_f64 v[176:177], v[98:99], v[88:89], v[96:97]
	v_mul_f64 v[88:89], v[100:101], v[88:89]
	v_add_f64 v[188:189], v[92:93], -v[176:177]
	v_fma_f64 v[178:179], v[98:99], v[90:91], -v[88:89]
	ds_read_b128 v[88:91], v223 offset:5280
	buffer_load_dword v98, off, s[40:43], 0 offset:592 ; 4-byte Folded Reload
	buffer_load_dword v99, off, s[40:43], 0 offset:596 ; 4-byte Folded Reload
	;; [unrolled: 1-line block ×4, first 2 shown]
	v_add_f64 v[182:183], v[94:95], -v[178:179]
	s_waitcnt vmcnt(0) lgkmcnt(0)
	v_mul_f64 v[96:97], v[100:101], v[90:91]
	v_fma_f64 v[148:149], v[98:99], v[88:89], v[96:97]
	v_mul_f64 v[88:89], v[100:101], v[88:89]
	v_fma_f64 v[144:145], v[98:99], v[90:91], -v[88:89]
	ds_read_b128 v[88:91], v223 offset:9680
	buffer_load_dword v98, off, s[40:43], 0 offset:576 ; 4-byte Folded Reload
	buffer_load_dword v99, off, s[40:43], 0 offset:580 ; 4-byte Folded Reload
	buffer_load_dword v100, off, s[40:43], 0 offset:584 ; 4-byte Folded Reload
	buffer_load_dword v101, off, s[40:43], 0 offset:588 ; 4-byte Folded Reload
	s_waitcnt vmcnt(0) lgkmcnt(0)
	v_mul_f64 v[96:97], v[100:101], v[90:91]
	v_fma_f64 v[152:153], v[98:99], v[88:89], v[96:97]
	v_mul_f64 v[88:89], v[100:101], v[88:89]
	v_fma_f64 v[146:147], v[98:99], v[90:91], -v[88:89]
	ds_read_b128 v[88:91], v223 offset:14080
	buffer_load_dword v98, off, s[40:43], 0 offset:560 ; 4-byte Folded Reload
	buffer_load_dword v99, off, s[40:43], 0 offset:564 ; 4-byte Folded Reload
	buffer_load_dword v100, off, s[40:43], 0 offset:568 ; 4-byte Folded Reload
	buffer_load_dword v101, off, s[40:43], 0 offset:572 ; 4-byte Folded Reload
	;; [unrolled: 10-line block ×15, first 2 shown]
	s_waitcnt vmcnt(0) lgkmcnt(0)
	v_mul_f64 v[108:109], v[162:163], v[90:91]
	v_fma_f64 v[110:111], v[160:161], v[88:89], v[108:109]
	v_mul_f64 v[88:89], v[162:163], v[88:89]
	v_add_f64 v[162:163], v[172:173], v[174:175]
	v_fma_f64 v[108:109], v[160:161], v[90:91], -v[88:89]
	v_add_f64 v[88:89], v[92:93], -v[168:169]
	v_add_f64 v[90:91], v[176:177], -v[170:171]
	v_add_f64 v[160:161], v[168:169], v[170:171]
	v_add_f64 v[164:165], v[88:89], v[90:91]
	v_add_f64 v[88:89], v[94:95], -v[172:173]
	v_add_f64 v[90:91], v[178:179], -v[174:175]
	v_add_f64 v[166:167], v[88:89], v[90:91]
	ds_read_b128 v[88:91], v223
	s_waitcnt lgkmcnt(0)
	v_fma_f64 v[180:181], v[160:161], -0.5, v[88:89]
	v_fma_f64 v[186:187], v[162:163], -0.5, v[90:91]
	v_fma_f64 v[160:161], v[182:183], s[16:17], v[180:181]
	v_fma_f64 v[162:163], v[188:189], s[12:13], v[186:187]
	;; [unrolled: 1-line block ×12, first 2 shown]
	v_add_f64 v[180:181], v[92:93], v[176:177]
	v_add_f64 v[186:187], v[94:95], v[178:179]
	v_fma_f64 v[180:181], v[180:181], -0.5, v[88:89]
	v_fma_f64 v[186:187], v[186:187], -0.5, v[90:91]
	v_add_f64 v[88:89], v[88:89], v[92:93]
	v_add_f64 v[90:91], v[90:91], v[94:95]
	v_add_f64 v[92:93], v[168:169], -v[92:93]
	v_fma_f64 v[194:195], v[184:185], s[12:13], v[180:181]
	v_fma_f64 v[180:181], v[184:185], s[16:17], v[180:181]
	v_add_f64 v[88:89], v[88:89], v[168:169]
	v_add_f64 v[90:91], v[90:91], v[172:173]
	v_add_f64 v[184:185], v[170:171], -v[176:177]
	v_add_f64 v[88:89], v[88:89], v[170:171]
	v_add_f64 v[90:91], v[90:91], v[174:175]
	;; [unrolled: 1-line block ×5, first 2 shown]
	v_add_f64 v[88:89], v[172:173], -v[94:95]
	v_add_f64 v[90:91], v[174:175], -v[178:179]
	v_fma_f64 v[94:95], v[190:191], s[16:17], v[186:187]
	v_fma_f64 v[172:173], v[190:191], s[12:13], v[186:187]
	;; [unrolled: 1-line block ×4, first 2 shown]
	v_add_f64 v[88:89], v[88:89], v[90:91]
	v_fma_f64 v[90:91], v[188:189], s[4:5], v[94:95]
	v_fma_f64 v[94:95], v[188:189], s[0:1], v[172:173]
	;; [unrolled: 1-line block ×6, first 2 shown]
	ds_read_b128 v[88:91], v223 offset:3520
	ds_read_b128 v[180:183], v223 offset:880
	;; [unrolled: 1-line block ×4, first 2 shown]
	s_waitcnt lgkmcnt(0)
	; wave barrier
	s_waitcnt lgkmcnt(0)
	ds_write_b128 v255, v[168:171]
	ds_write_b128 v255, v[160:163] offset:176
	ds_write_b128 v255, v[172:175] offset:352
	;; [unrolled: 1-line block ×4, first 2 shown]
	v_add_f64 v[160:161], v[152:153], -v[148:149]
	v_add_f64 v[162:163], v[154:155], -v[158:159]
	buffer_load_dword v255, off, s[40:43], 0 offset:864 ; 4-byte Folded Reload
	v_add_f64 v[170:171], v[146:147], -v[150:151]
	v_add_f64 v[176:177], v[152:153], -v[154:155]
	;; [unrolled: 1-line block ×4, first 2 shown]
	v_add_f64 v[164:165], v[160:161], v[162:163]
	v_add_f64 v[160:161], v[146:147], -v[144:145]
	v_add_f64 v[162:163], v[150:151], -v[156:157]
	v_add_f64 v[166:167], v[160:161], v[162:163]
	v_add_f64 v[160:161], v[148:149], v[158:159]
	;; [unrolled: 1-line block ×3, first 2 shown]
	v_fma_f64 v[168:169], v[160:161], -0.5, v[180:181]
	v_fma_f64 v[174:175], v[162:163], -0.5, v[182:183]
	v_fma_f64 v[160:161], v[170:171], s[12:13], v[168:169]
	v_fma_f64 v[162:163], v[176:177], s[16:17], v[174:175]
	;; [unrolled: 1-line block ×12, first 2 shown]
	v_add_f64 v[168:169], v[152:153], v[154:155]
	v_add_f64 v[174:175], v[146:147], v[150:151]
	v_fma_f64 v[168:169], v[168:169], -0.5, v[180:181]
	v_fma_f64 v[174:175], v[174:175], -0.5, v[182:183]
	v_add_f64 v[180:181], v[180:181], v[148:149]
	v_add_f64 v[182:183], v[182:183], v[144:145]
	v_add_f64 v[148:149], v[148:149], -v[152:153]
	v_add_f64 v[144:145], v[144:145], -v[146:147]
	v_fma_f64 v[188:189], v[172:173], s[16:17], v[168:169]
	v_fma_f64 v[168:169], v[172:173], s[12:13], v[168:169]
	v_add_f64 v[180:181], v[180:181], v[152:153]
	v_add_f64 v[152:153], v[182:183], v[146:147]
	v_add_f64 v[182:183], v[158:159], -v[154:155]
	v_add_f64 v[146:147], v[156:157], -v[150:151]
	v_fma_f64 v[168:169], v[170:171], s[4:5], v[168:169]
	v_add_f64 v[172:173], v[180:181], v[154:155]
	v_add_f64 v[180:181], v[152:153], v[150:151]
	v_fma_f64 v[150:151], v[178:179], s[12:13], v[174:175]
	v_add_f64 v[148:149], v[148:149], v[182:183]
	v_add_f64 v[152:153], v[172:173], v[158:159]
	;; [unrolled: 1-line block ×3, first 2 shown]
	v_fma_f64 v[156:157], v[178:179], s[16:17], v[174:175]
	v_fma_f64 v[158:159], v[170:171], s[0:1], v[188:189]
	v_add_f64 v[170:171], v[144:145], v[146:147]
	v_fma_f64 v[146:147], v[176:177], s[4:5], v[150:151]
	v_fma_f64 v[150:151], v[176:177], s[0:1], v[156:157]
	;; [unrolled: 1-line block ×5, first 2 shown]
	v_add_f64 v[156:157], v[128:129], -v[140:141]
	v_fma_f64 v[150:151], v[170:171], s[2:3], v[150:151]
	s_waitcnt vmcnt(0)
	ds_write_b128 v255, v[152:155]
	ds_write_b128 v255, v[144:147] offset:176
	ds_write_b128 v255, v[160:163] offset:352
	;; [unrolled: 1-line block ×4, first 2 shown]
	v_add_f64 v[144:145], v[138:139], -v[132:133]
	v_add_f64 v[146:147], v[136:137], -v[142:143]
	;; [unrolled: 1-line block ×5, first 2 shown]
	v_add_f64 v[164:165], v[184:185], v[132:133]
	v_add_f64 v[166:167], v[186:187], v[128:129]
	v_add_f64 v[148:149], v[144:145], v[146:147]
	v_add_f64 v[144:145], v[130:131], -v[128:129]
	v_add_f64 v[146:147], v[134:135], -v[140:141]
	v_add_f64 v[164:165], v[164:165], v[138:139]
	v_add_f64 v[150:151], v[144:145], v[146:147]
	;; [unrolled: 1-line block ×4, first 2 shown]
	v_add_f64 v[132:133], v[132:133], -v[138:139]
	v_add_f64 v[128:129], v[128:129], -v[130:131]
	v_fma_f64 v[152:153], v[144:145], -0.5, v[184:185]
	v_fma_f64 v[158:159], v[146:147], -0.5, v[186:187]
	v_fma_f64 v[144:145], v[154:155], s[12:13], v[152:153]
	v_fma_f64 v[146:147], v[160:161], s[16:17], v[158:159]
	;; [unrolled: 1-line block ×12, first 2 shown]
	v_add_f64 v[152:153], v[138:139], v[136:137]
	v_add_f64 v[158:159], v[130:131], v[134:135]
	;; [unrolled: 1-line block ×3, first 2 shown]
	v_add_f64 v[130:131], v[140:141], -v[134:135]
	v_fma_f64 v[152:153], v[152:153], -0.5, v[184:185]
	v_fma_f64 v[158:159], v[158:159], -0.5, v[186:187]
	v_add_f64 v[138:139], v[138:139], v[134:135]
	v_fma_f64 v[168:169], v[156:157], s[16:17], v[152:153]
	v_fma_f64 v[152:153], v[156:157], s[12:13], v[152:153]
	v_add_f64 v[156:157], v[164:165], v[136:137]
	v_add_f64 v[164:165], v[142:143], -v[136:137]
	v_fma_f64 v[134:135], v[162:163], s[12:13], v[158:159]
	v_add_f64 v[138:139], v[138:139], v[140:141]
	v_fma_f64 v[140:141], v[162:163], s[16:17], v[158:159]
	v_fma_f64 v[152:153], v[154:155], s[4:5], v[152:153]
	v_add_f64 v[136:137], v[156:157], v[142:143]
	v_add_f64 v[132:133], v[132:133], v[164:165]
	v_fma_f64 v[142:143], v[154:155], s[0:1], v[168:169]
	v_add_f64 v[154:155], v[128:129], v[130:131]
	v_fma_f64 v[130:131], v[160:161], s[4:5], v[134:135]
	v_fma_f64 v[134:135], v[160:161], s[0:1], v[140:141]
	v_add_f64 v[140:141], v[112:113], -v[124:125]
	v_fma_f64 v[128:129], v[132:133], s[2:3], v[142:143]
	v_fma_f64 v[132:133], v[132:133], s[2:3], v[152:153]
	;; [unrolled: 1-line block ×4, first 2 shown]
	ds_write_b128 v253, v[136:139]
	ds_write_b128 v253, v[128:131] offset:176
	ds_write_b128 v253, v[144:147] offset:352
	;; [unrolled: 1-line block ×4, first 2 shown]
	v_add_f64 v[128:129], v[120:121], -v[116:117]
	v_add_f64 v[130:131], v[122:123], -v[126:127]
	;; [unrolled: 1-line block ×5, first 2 shown]
	v_add_f64 v[132:133], v[128:129], v[130:131]
	v_add_f64 v[128:129], v[114:115], -v[112:113]
	v_add_f64 v[130:131], v[118:119], -v[124:125]
	v_add_f64 v[134:135], v[128:129], v[130:131]
	v_add_f64 v[130:131], v[112:113], v[124:125]
	;; [unrolled: 1-line block ×3, first 2 shown]
	v_fma_f64 v[142:143], v[130:131], -0.5, v[94:95]
	v_fma_f64 v[136:137], v[128:129], -0.5, v[92:93]
	v_fma_f64 v[130:131], v[144:145], s[16:17], v[142:143]
	v_fma_f64 v[142:143], v[144:145], s[12:13], v[142:143]
	;; [unrolled: 1-line block ×10, first 2 shown]
	v_add_f64 v[142:143], v[114:115], v[118:119]
	v_fma_f64 v[128:129], v[132:133], s[2:3], v[128:129]
	v_fma_f64 v[132:133], v[132:133], s[2:3], v[136:137]
	v_add_f64 v[136:137], v[120:121], v[122:123]
	v_fma_f64 v[142:143], v[142:143], -0.5, v[94:95]
	v_add_f64 v[94:95], v[94:95], v[112:113]
	v_add_f64 v[112:113], v[112:113], -v[114:115]
	v_fma_f64 v[136:137], v[136:137], -0.5, v[92:93]
	v_add_f64 v[92:93], v[92:93], v[116:117]
	v_add_f64 v[116:117], v[116:117], -v[120:121]
	v_add_f64 v[94:95], v[94:95], v[114:115]
	v_add_f64 v[114:115], v[124:125], -v[118:119]
	v_add_f64 v[92:93], v[92:93], v[120:121]
	v_fma_f64 v[120:121], v[140:141], s[16:17], v[136:137]
	v_fma_f64 v[136:137], v[140:141], s[12:13], v[136:137]
	v_add_f64 v[94:95], v[94:95], v[118:119]
	v_fma_f64 v[118:119], v[146:147], s[12:13], v[142:143]
	v_add_f64 v[92:93], v[92:93], v[122:123]
	v_add_f64 v[122:123], v[126:127], -v[122:123]
	v_fma_f64 v[120:121], v[138:139], s[0:1], v[120:121]
	v_add_f64 v[94:95], v[94:95], v[124:125]
	v_fma_f64 v[124:125], v[146:147], s[16:17], v[142:143]
	v_add_f64 v[92:93], v[92:93], v[126:127]
	v_add_f64 v[116:117], v[116:117], v[122:123]
	;; [unrolled: 1-line block ×3, first 2 shown]
	v_fma_f64 v[114:115], v[144:145], s[4:5], v[118:119]
	v_fma_f64 v[122:123], v[138:139], s[4:5], v[136:137]
	v_fma_f64 v[118:119], v[144:145], s[0:1], v[124:125]
	v_add_f64 v[124:125], v[106:107], -v[104:105]
	v_fma_f64 v[112:113], v[116:117], s[2:3], v[120:121]
	v_add_f64 v[120:121], v[96:97], -v[108:109]
	v_fma_f64 v[114:115], v[126:127], s[2:3], v[114:115]
	v_fma_f64 v[116:117], v[116:117], s[2:3], v[122:123]
	;; [unrolled: 1-line block ×3, first 2 shown]
	ds_write_b128 v252, v[92:95]
	ds_write_b128 v252, v[112:115] offset:176
	ds_write_b128 v252, v[128:131] offset:352
	;; [unrolled: 1-line block ×4, first 2 shown]
	v_add_f64 v[92:93], v[106:107], -v[100:101]
	v_add_f64 v[94:95], v[104:105], -v[110:111]
	;; [unrolled: 1-line block ×4, first 2 shown]
	v_add_f64 v[112:113], v[92:93], v[94:95]
	v_add_f64 v[92:93], v[98:99], -v[96:97]
	v_add_f64 v[94:95], v[102:103], -v[108:109]
	v_add_f64 v[114:115], v[92:93], v[94:95]
	v_add_f64 v[94:95], v[96:97], v[108:109]
	;; [unrolled: 1-line block ×3, first 2 shown]
	v_fma_f64 v[122:123], v[94:95], -0.5, v[90:91]
	v_fma_f64 v[116:117], v[92:93], -0.5, v[88:89]
	v_fma_f64 v[94:95], v[124:125], s[16:17], v[122:123]
	v_fma_f64 v[122:123], v[124:125], s[12:13], v[122:123]
	;; [unrolled: 1-line block ×10, first 2 shown]
	v_add_f64 v[122:123], v[98:99], v[102:103]
	v_fma_f64 v[92:93], v[112:113], s[2:3], v[92:93]
	v_fma_f64 v[112:113], v[112:113], s[2:3], v[116:117]
	v_add_f64 v[116:117], v[106:107], v[104:105]
	v_fma_f64 v[122:123], v[122:123], -0.5, v[90:91]
	v_add_f64 v[90:91], v[90:91], v[96:97]
	v_add_f64 v[96:97], v[96:97], -v[98:99]
	v_fma_f64 v[116:117], v[116:117], -0.5, v[88:89]
	v_add_f64 v[88:89], v[88:89], v[100:101]
	v_add_f64 v[100:101], v[100:101], -v[106:107]
	v_add_f64 v[90:91], v[90:91], v[98:99]
	v_add_f64 v[98:99], v[108:109], -v[102:103]
	v_add_f64 v[88:89], v[88:89], v[106:107]
	v_fma_f64 v[106:107], v[120:121], s[16:17], v[116:117]
	v_fma_f64 v[116:117], v[120:121], s[12:13], v[116:117]
	v_add_f64 v[90:91], v[90:91], v[102:103]
	v_fma_f64 v[102:103], v[126:127], s[12:13], v[122:123]
	v_add_f64 v[88:89], v[88:89], v[104:105]
	v_add_f64 v[104:105], v[110:111], -v[104:105]
	v_add_f64 v[90:91], v[90:91], v[108:109]
	v_fma_f64 v[108:109], v[126:127], s[16:17], v[122:123]
	v_add_f64 v[88:89], v[88:89], v[110:111]
	v_add_f64 v[100:101], v[100:101], v[104:105]
	v_fma_f64 v[104:105], v[118:119], s[0:1], v[106:107]
	v_add_f64 v[110:111], v[96:97], v[98:99]
	v_fma_f64 v[98:99], v[124:125], s[4:5], v[102:103]
	v_fma_f64 v[106:107], v[118:119], s[4:5], v[116:117]
	;; [unrolled: 1-line block ×7, first 2 shown]
	ds_write_b128 v251, v[88:91]
	ds_write_b128 v251, v[96:99] offset:176
	ds_write_b128 v251, v[92:95] offset:352
	;; [unrolled: 1-line block ×4, first 2 shown]
	s_waitcnt lgkmcnt(0)
	; wave barrier
	s_waitcnt lgkmcnt(0)
	ds_read_b128 v[88:91], v223 offset:4400
	s_waitcnt lgkmcnt(0)
	v_mul_f64 v[92:93], v[214:215], v[90:91]
	v_fma_f64 v[108:109], v[212:213], v[88:89], v[92:93]
	v_mul_f64 v[88:89], v[214:215], v[88:89]
	v_fma_f64 v[110:111], v[212:213], v[90:91], -v[88:89]
	ds_read_b128 v[88:91], v223 offset:5280
	s_waitcnt lgkmcnt(0)
	v_mul_f64 v[92:93], v[214:215], v[90:91]
	v_fma_f64 v[128:129], v[212:213], v[88:89], v[92:93]
	v_mul_f64 v[88:89], v[214:215], v[88:89]
	v_fma_f64 v[130:131], v[212:213], v[90:91], -v[88:89]
	;; [unrolled: 6-line block ×4, first 2 shown]
	ds_read_b128 v[88:91], v223 offset:13200
	s_waitcnt lgkmcnt(0)
	v_mul_f64 v[92:93], v[206:207], v[90:91]
	v_fma_f64 v[116:117], v[204:205], v[88:89], v[92:93]
	v_mul_f64 v[88:89], v[206:207], v[88:89]
	v_add_f64 v[166:167], v[112:113], -v[116:117]
	v_fma_f64 v[118:119], v[204:205], v[90:91], -v[88:89]
	ds_read_b128 v[88:91], v223 offset:14080
	s_waitcnt lgkmcnt(0)
	v_mul_f64 v[92:93], v[206:207], v[90:91]
	v_add_f64 v[144:145], v[114:115], -v[118:119]
	v_fma_f64 v[136:137], v[204:205], v[88:89], v[92:93]
	v_mul_f64 v[88:89], v[206:207], v[88:89]
	v_add_f64 v[186:187], v[132:133], -v[136:137]
	v_fma_f64 v[138:139], v[204:205], v[90:91], -v[88:89]
	ds_read_b128 v[88:91], v223 offset:17600
	s_waitcnt lgkmcnt(0)
	v_mul_f64 v[92:93], v[202:203], v[90:91]
	v_fma_f64 v[120:121], v[200:201], v[88:89], v[92:93]
	v_mul_f64 v[88:89], v[202:203], v[88:89]
	v_add_f64 v[164:165], v[108:109], -v[120:121]
	v_fma_f64 v[122:123], v[200:201], v[90:91], -v[88:89]
	ds_read_b128 v[88:91], v223 offset:18480
	s_waitcnt lgkmcnt(0)
	v_mul_f64 v[92:93], v[202:203], v[90:91]
	v_add_f64 v[126:127], v[110:111], -v[122:123]
	v_fma_f64 v[140:141], v[200:201], v[88:89], v[92:93]
	v_mul_f64 v[88:89], v[202:203], v[88:89]
	v_add_f64 v[184:185], v[128:129], -v[140:141]
	v_fma_f64 v[142:143], v[200:201], v[90:91], -v[88:89]
	ds_read_b128 v[88:91], v223 offset:6160
	buffer_load_dword v94, off, s[40:43], 0 offset:848 ; 4-byte Folded Reload
	buffer_load_dword v95, off, s[40:43], 0 offset:852 ; 4-byte Folded Reload
	buffer_load_dword v96, off, s[40:43], 0 offset:856 ; 4-byte Folded Reload
	buffer_load_dword v97, off, s[40:43], 0 offset:860 ; 4-byte Folded Reload
	s_waitcnt vmcnt(0) lgkmcnt(0)
	v_mul_f64 v[92:93], v[96:97], v[90:91]
	v_fma_f64 v[148:149], v[94:95], v[88:89], v[92:93]
	v_mul_f64 v[88:89], v[96:97], v[88:89]
	v_fma_f64 v[150:151], v[94:95], v[90:91], -v[88:89]
	ds_read_b128 v[88:91], v223 offset:10560
	buffer_load_dword v94, off, s[40:43], 0 offset:832 ; 4-byte Folded Reload
	buffer_load_dword v95, off, s[40:43], 0 offset:836 ; 4-byte Folded Reload
	buffer_load_dword v96, off, s[40:43], 0 offset:840 ; 4-byte Folded Reload
	buffer_load_dword v97, off, s[40:43], 0 offset:844 ; 4-byte Folded Reload
	s_waitcnt vmcnt(0) lgkmcnt(0)
	v_mul_f64 v[92:93], v[96:97], v[90:91]
	v_fma_f64 v[152:153], v[94:95], v[88:89], v[92:93]
	v_mul_f64 v[88:89], v[96:97], v[88:89]
	;; [unrolled: 10-line block ×3, first 2 shown]
	v_add_f64 v[190:191], v[152:153], -v[156:157]
	v_fma_f64 v[158:159], v[94:95], v[90:91], -v[88:89]
	ds_read_b128 v[88:91], v223 offset:19360
	buffer_load_dword v94, off, s[40:43], 0 offset:800 ; 4-byte Folded Reload
	buffer_load_dword v95, off, s[40:43], 0 offset:804 ; 4-byte Folded Reload
	;; [unrolled: 1-line block ×4, first 2 shown]
	s_waitcnt vmcnt(0) lgkmcnt(0)
	v_mul_f64 v[92:93], v[96:97], v[90:91]
	v_fma_f64 v[160:161], v[94:95], v[88:89], v[92:93]
	v_mul_f64 v[88:89], v[96:97], v[88:89]
	v_add_f64 v[188:189], v[148:149], -v[160:161]
	v_fma_f64 v[162:163], v[94:95], v[90:91], -v[88:89]
	ds_read_b128 v[88:91], v223 offset:7040
	buffer_load_dword v94, off, s[40:43], 0 offset:916 ; 4-byte Folded Reload
	buffer_load_dword v95, off, s[40:43], 0 offset:920 ; 4-byte Folded Reload
	buffer_load_dword v96, off, s[40:43], 0 offset:924 ; 4-byte Folded Reload
	buffer_load_dword v97, off, s[40:43], 0 offset:928 ; 4-byte Folded Reload
	s_waitcnt vmcnt(0) lgkmcnt(0)
	v_mul_f64 v[92:93], v[96:97], v[90:91]
	v_fma_f64 v[168:169], v[94:95], v[88:89], v[92:93]
	v_mul_f64 v[88:89], v[96:97], v[88:89]
	v_fma_f64 v[170:171], v[94:95], v[90:91], -v[88:89]
	ds_read_b128 v[88:91], v223 offset:11440
	buffer_load_dword v94, off, s[40:43], 0 offset:900 ; 4-byte Folded Reload
	buffer_load_dword v95, off, s[40:43], 0 offset:904 ; 4-byte Folded Reload
	buffer_load_dword v96, off, s[40:43], 0 offset:908 ; 4-byte Folded Reload
	buffer_load_dword v97, off, s[40:43], 0 offset:912 ; 4-byte Folded Reload
	s_waitcnt vmcnt(0) lgkmcnt(0)
	v_mul_f64 v[92:93], v[96:97], v[90:91]
	v_fma_f64 v[172:173], v[94:95], v[88:89], v[92:93]
	v_mul_f64 v[88:89], v[96:97], v[88:89]
	;; [unrolled: 10-line block ×3, first 2 shown]
	v_add_f64 v[196:197], v[172:173], -v[176:177]
	v_fma_f64 v[178:179], v[94:95], v[90:91], -v[88:89]
	ds_read_b128 v[88:91], v223 offset:20240
	buffer_load_dword v94, off, s[40:43], 0 offset:868 ; 4-byte Folded Reload
	buffer_load_dword v95, off, s[40:43], 0 offset:872 ; 4-byte Folded Reload
	buffer_load_dword v96, off, s[40:43], 0 offset:876 ; 4-byte Folded Reload
	buffer_load_dword v97, off, s[40:43], 0 offset:880 ; 4-byte Folded Reload
	s_waitcnt vmcnt(0) lgkmcnt(0)
	v_mul_f64 v[92:93], v[96:97], v[90:91]
	v_fma_f64 v[180:181], v[94:95], v[88:89], v[92:93]
	v_mul_f64 v[88:89], v[96:97], v[88:89]
	v_add_f64 v[194:195], v[168:169], -v[180:181]
	v_fma_f64 v[182:183], v[94:95], v[90:91], -v[88:89]
	ds_read_b128 v[88:91], v223 offset:7920
	s_waitcnt lgkmcnt(0)
	v_mul_f64 v[92:93], v[6:7], v[90:91]
	v_mul_f64 v[6:7], v[6:7], v[88:89]
	v_fma_f64 v[92:93], v[4:5], v[88:89], v[92:93]
	v_fma_f64 v[88:89], v[4:5], v[90:91], -v[6:7]
	ds_read_b128 v[4:7], v223 offset:12320
	s_waitcnt lgkmcnt(0)
	v_mul_f64 v[90:91], v[2:3], v[6:7]
	v_mul_f64 v[2:3], v[2:3], v[4:5]
	v_fma_f64 v[98:99], v[0:1], v[4:5], v[90:91]
	v_fma_f64 v[90:91], v[0:1], v[6:7], -v[2:3]
	ds_read_b128 v[0:3], v223 offset:16720
	buffer_load_dword v100, off, s[40:43], 0 offset:948 ; 4-byte Folded Reload
	buffer_load_dword v101, off, s[40:43], 0 offset:952 ; 4-byte Folded Reload
	buffer_load_dword v102, off, s[40:43], 0 offset:956 ; 4-byte Folded Reload
	buffer_load_dword v103, off, s[40:43], 0 offset:960 ; 4-byte Folded Reload
	v_add_f64 v[6:7], v[114:115], v[118:119]
	s_waitcnt vmcnt(0) lgkmcnt(0)
	v_mul_f64 v[4:5], v[102:103], v[2:3]
	v_fma_f64 v[96:97], v[100:101], v[0:1], v[4:5]
	v_mul_f64 v[0:1], v[102:103], v[0:1]
	v_add_f64 v[200:201], v[98:99], -v[96:97]
	v_fma_f64 v[94:95], v[100:101], v[2:3], -v[0:1]
	ds_read_b128 v[0:3], v223 offset:21120
	buffer_load_dword v104, off, s[40:43], 0 offset:932 ; 4-byte Folded Reload
	buffer_load_dword v105, off, s[40:43], 0 offset:936 ; 4-byte Folded Reload
	;; [unrolled: 1-line block ×4, first 2 shown]
	s_waitcnt vmcnt(0) lgkmcnt(0)
	v_mul_f64 v[4:5], v[106:107], v[2:3]
	v_fma_f64 v[102:103], v[104:105], v[0:1], v[4:5]
	v_mul_f64 v[0:1], v[106:107], v[0:1]
	v_add_f64 v[4:5], v[122:123], -v[118:119]
	v_add_f64 v[198:199], v[92:93], -v[102:103]
	v_fma_f64 v[100:101], v[104:105], v[2:3], -v[0:1]
	v_add_f64 v[0:1], v[108:109], -v[112:113]
	v_add_f64 v[2:3], v[120:121], -v[116:117]
	ds_read_b128 v[104:107], v223
	s_waitcnt lgkmcnt(0)
	v_fma_f64 v[146:147], v[6:7], -0.5, v[106:107]
	v_add_f64 v[0:1], v[0:1], v[2:3]
	v_add_f64 v[2:3], v[110:111], -v[114:115]
	v_fma_f64 v[6:7], v[164:165], s[12:13], v[146:147]
	v_fma_f64 v[146:147], v[164:165], s[16:17], v[146:147]
	v_add_f64 v[2:3], v[2:3], v[4:5]
	v_add_f64 v[4:5], v[112:113], v[116:117]
	v_fma_f64 v[6:7], v[166:167], s[4:5], v[6:7]
	v_fma_f64 v[146:147], v[166:167], s[0:1], v[146:147]
	v_fma_f64 v[124:125], v[4:5], -0.5, v[104:105]
	v_fma_f64 v[6:7], v[2:3], s[2:3], v[6:7]
	v_fma_f64 v[2:3], v[2:3], s[2:3], v[146:147]
	v_add_f64 v[146:147], v[110:111], v[122:123]
	v_fma_f64 v[4:5], v[126:127], s[16:17], v[124:125]
	v_fma_f64 v[124:125], v[126:127], s[12:13], v[124:125]
	v_fma_f64 v[146:147], v[146:147], -0.5, v[106:107]
	v_add_f64 v[106:107], v[106:107], v[110:111]
	v_fma_f64 v[4:5], v[144:145], s[0:1], v[4:5]
	v_fma_f64 v[124:125], v[144:145], s[4:5], v[124:125]
	v_add_f64 v[110:111], v[114:115], -v[110:111]
	v_add_f64 v[106:107], v[106:107], v[114:115]
	v_fma_f64 v[4:5], v[0:1], s[2:3], v[4:5]
	v_fma_f64 v[0:1], v[0:1], s[2:3], v[124:125]
	v_add_f64 v[124:125], v[108:109], v[120:121]
	v_add_f64 v[114:115], v[118:119], -v[122:123]
	v_add_f64 v[106:107], v[106:107], v[118:119]
	v_fma_f64 v[118:119], v[166:167], s[16:17], v[146:147]
	v_fma_f64 v[124:125], v[124:125], -0.5, v[104:105]
	v_add_f64 v[104:105], v[104:105], v[108:109]
	v_add_f64 v[108:109], v[112:113], -v[108:109]
	v_add_f64 v[114:115], v[110:111], v[114:115]
	v_add_f64 v[106:107], v[106:107], v[122:123]
	v_fma_f64 v[110:111], v[164:165], s[4:5], v[118:119]
	v_add_f64 v[122:123], v[134:135], v[138:139]
	v_add_f64 v[104:105], v[104:105], v[112:113]
	v_fma_f64 v[112:113], v[144:145], s[12:13], v[124:125]
	v_fma_f64 v[124:125], v[144:145], s[16:17], v[124:125]
	;; [unrolled: 1-line block ×3, first 2 shown]
	v_add_f64 v[104:105], v[104:105], v[116:117]
	v_add_f64 v[116:117], v[116:117], -v[120:121]
	v_add_f64 v[104:105], v[104:105], v[120:121]
	v_fma_f64 v[120:121], v[166:167], s[12:13], v[146:147]
	v_add_f64 v[116:117], v[108:109], v[116:117]
	v_fma_f64 v[108:109], v[126:127], s[0:1], v[112:113]
	v_fma_f64 v[112:113], v[126:127], s[4:5], v[124:125]
	v_add_f64 v[146:147], v[130:131], -v[142:143]
	v_fma_f64 v[118:119], v[164:165], s[0:1], v[120:121]
	v_add_f64 v[120:121], v[132:133], v[136:137]
	v_fma_f64 v[108:109], v[116:117], s[2:3], v[108:109]
	v_fma_f64 v[112:113], v[116:117], s[2:3], v[112:113]
	v_add_f64 v[116:117], v[128:129], -v[132:133]
	v_add_f64 v[164:165], v[134:135], -v[138:139]
	v_fma_f64 v[114:115], v[114:115], s[2:3], v[118:119]
	v_add_f64 v[118:119], v[140:141], -v[136:137]
	v_add_f64 v[124:125], v[116:117], v[118:119]
	v_add_f64 v[116:117], v[130:131], -v[134:135]
	v_add_f64 v[118:119], v[142:143], -v[138:139]
	v_add_f64 v[126:127], v[116:117], v[118:119]
	ds_read_b128 v[116:119], v223 offset:880
	s_waitcnt lgkmcnt(0)
	v_fma_f64 v[144:145], v[120:121], -0.5, v[116:117]
	v_fma_f64 v[166:167], v[122:123], -0.5, v[118:119]
	v_fma_f64 v[120:121], v[146:147], s[16:17], v[144:145]
	v_fma_f64 v[144:145], v[146:147], s[12:13], v[144:145]
	;; [unrolled: 1-line block ×10, first 2 shown]
	v_add_f64 v[144:145], v[128:129], v[140:141]
	v_fma_f64 v[122:123], v[126:127], s[2:3], v[122:123]
	v_fma_f64 v[126:127], v[126:127], s[2:3], v[166:167]
	v_add_f64 v[166:167], v[130:131], v[142:143]
	v_fma_f64 v[144:145], v[144:145], -0.5, v[116:117]
	v_add_f64 v[116:117], v[116:117], v[128:129]
	v_add_f64 v[128:129], v[132:133], -v[128:129]
	v_fma_f64 v[166:167], v[166:167], -0.5, v[118:119]
	v_add_f64 v[118:119], v[118:119], v[130:131]
	v_add_f64 v[130:131], v[134:135], -v[130:131]
	v_add_f64 v[116:117], v[116:117], v[132:133]
	v_fma_f64 v[132:133], v[164:165], s[12:13], v[144:145]
	v_fma_f64 v[144:145], v[164:165], s[16:17], v[144:145]
	v_add_f64 v[118:119], v[118:119], v[134:135]
	v_add_f64 v[134:135], v[138:139], -v[142:143]
	v_add_f64 v[116:117], v[116:117], v[136:137]
	v_add_f64 v[136:137], v[136:137], -v[140:141]
	v_add_f64 v[118:119], v[118:119], v[138:139]
	v_fma_f64 v[138:139], v[186:187], s[16:17], v[166:167]
	v_add_f64 v[134:135], v[130:131], v[134:135]
	v_add_f64 v[116:117], v[116:117], v[140:141]
	v_fma_f64 v[140:141], v[186:187], s[12:13], v[166:167]
	v_add_f64 v[136:137], v[128:129], v[136:137]
	v_fma_f64 v[128:129], v[146:147], s[0:1], v[132:133]
	v_fma_f64 v[132:133], v[146:147], s[4:5], v[144:145]
	;; [unrolled: 1-line block ×3, first 2 shown]
	v_add_f64 v[118:119], v[118:119], v[142:143]
	v_add_f64 v[166:167], v[150:151], -v[162:163]
	v_add_f64 v[142:143], v[154:155], v[158:159]
	v_fma_f64 v[138:139], v[184:185], s[0:1], v[140:141]
	v_add_f64 v[140:141], v[152:153], v[156:157]
	v_fma_f64 v[128:129], v[136:137], s[2:3], v[128:129]
	v_fma_f64 v[132:133], v[136:137], s[2:3], v[132:133]
	;; [unrolled: 1-line block ×3, first 2 shown]
	v_add_f64 v[136:137], v[148:149], -v[152:153]
	v_add_f64 v[184:185], v[154:155], -v[158:159]
	v_fma_f64 v[134:135], v[134:135], s[2:3], v[138:139]
	v_add_f64 v[138:139], v[160:161], -v[156:157]
	v_add_f64 v[144:145], v[136:137], v[138:139]
	v_add_f64 v[136:137], v[150:151], -v[154:155]
	v_add_f64 v[138:139], v[162:163], -v[158:159]
	v_add_f64 v[146:147], v[136:137], v[138:139]
	ds_read_b128 v[136:139], v223 offset:1760
	s_waitcnt lgkmcnt(0)
	v_fma_f64 v[164:165], v[140:141], -0.5, v[136:137]
	v_fma_f64 v[186:187], v[142:143], -0.5, v[138:139]
	v_fma_f64 v[140:141], v[166:167], s[16:17], v[164:165]
	v_fma_f64 v[164:165], v[166:167], s[12:13], v[164:165]
	;; [unrolled: 1-line block ×10, first 2 shown]
	v_add_f64 v[164:165], v[148:149], v[160:161]
	v_fma_f64 v[142:143], v[146:147], s[2:3], v[142:143]
	v_fma_f64 v[146:147], v[146:147], s[2:3], v[186:187]
	v_add_f64 v[186:187], v[150:151], v[162:163]
	v_fma_f64 v[164:165], v[164:165], -0.5, v[136:137]
	v_add_f64 v[136:137], v[136:137], v[148:149]
	v_add_f64 v[148:149], v[152:153], -v[148:149]
	v_fma_f64 v[186:187], v[186:187], -0.5, v[138:139]
	v_add_f64 v[138:139], v[138:139], v[150:151]
	v_add_f64 v[150:151], v[154:155], -v[150:151]
	v_add_f64 v[136:137], v[136:137], v[152:153]
	v_fma_f64 v[152:153], v[184:185], s[12:13], v[164:165]
	v_fma_f64 v[164:165], v[184:185], s[16:17], v[164:165]
	v_add_f64 v[138:139], v[138:139], v[154:155]
	v_add_f64 v[154:155], v[158:159], -v[162:163]
	v_add_f64 v[136:137], v[136:137], v[156:157]
	v_add_f64 v[156:157], v[156:157], -v[160:161]
	v_add_f64 v[138:139], v[138:139], v[158:159]
	v_fma_f64 v[158:159], v[190:191], s[16:17], v[186:187]
	v_add_f64 v[154:155], v[150:151], v[154:155]
	v_add_f64 v[136:137], v[136:137], v[160:161]
	v_fma_f64 v[160:161], v[190:191], s[12:13], v[186:187]
	v_add_f64 v[156:157], v[148:149], v[156:157]
	v_fma_f64 v[148:149], v[166:167], s[0:1], v[152:153]
	v_fma_f64 v[152:153], v[166:167], s[4:5], v[164:165]
	;; [unrolled: 1-line block ×3, first 2 shown]
	v_add_f64 v[138:139], v[138:139], v[162:163]
	v_add_f64 v[186:187], v[170:171], -v[182:183]
	v_add_f64 v[162:163], v[174:175], v[178:179]
	v_fma_f64 v[158:159], v[188:189], s[0:1], v[160:161]
	v_add_f64 v[160:161], v[172:173], v[176:177]
	v_fma_f64 v[148:149], v[156:157], s[2:3], v[148:149]
	v_fma_f64 v[152:153], v[156:157], s[2:3], v[152:153]
	;; [unrolled: 1-line block ×3, first 2 shown]
	v_add_f64 v[156:157], v[168:169], -v[172:173]
	v_add_f64 v[188:189], v[174:175], -v[178:179]
	v_fma_f64 v[154:155], v[154:155], s[2:3], v[158:159]
	v_add_f64 v[158:159], v[180:181], -v[176:177]
	v_add_f64 v[164:165], v[156:157], v[158:159]
	v_add_f64 v[156:157], v[170:171], -v[174:175]
	v_add_f64 v[158:159], v[182:183], -v[178:179]
	v_add_f64 v[166:167], v[156:157], v[158:159]
	ds_read_b128 v[156:159], v223 offset:2640
	s_waitcnt lgkmcnt(0)
	v_fma_f64 v[184:185], v[160:161], -0.5, v[156:157]
	v_fma_f64 v[190:191], v[162:163], -0.5, v[158:159]
	v_fma_f64 v[160:161], v[186:187], s[16:17], v[184:185]
	v_fma_f64 v[184:185], v[186:187], s[12:13], v[184:185]
	;; [unrolled: 1-line block ×10, first 2 shown]
	v_add_f64 v[184:185], v[168:169], v[180:181]
	v_fma_f64 v[162:163], v[166:167], s[2:3], v[162:163]
	v_fma_f64 v[166:167], v[166:167], s[2:3], v[190:191]
	v_add_f64 v[190:191], v[170:171], v[182:183]
	v_fma_f64 v[184:185], v[184:185], -0.5, v[156:157]
	v_add_f64 v[156:157], v[156:157], v[168:169]
	v_add_f64 v[168:169], v[172:173], -v[168:169]
	v_fma_f64 v[190:191], v[190:191], -0.5, v[158:159]
	v_add_f64 v[158:159], v[158:159], v[170:171]
	v_add_f64 v[170:171], v[174:175], -v[170:171]
	v_add_f64 v[156:157], v[156:157], v[172:173]
	v_fma_f64 v[172:173], v[188:189], s[12:13], v[184:185]
	v_fma_f64 v[184:185], v[188:189], s[16:17], v[184:185]
	v_add_f64 v[158:159], v[158:159], v[174:175]
	v_add_f64 v[174:175], v[178:179], -v[182:183]
	v_add_f64 v[156:157], v[156:157], v[176:177]
	v_add_f64 v[176:177], v[176:177], -v[180:181]
	v_add_f64 v[158:159], v[158:159], v[178:179]
	v_fma_f64 v[178:179], v[196:197], s[16:17], v[190:191]
	v_add_f64 v[174:175], v[170:171], v[174:175]
	v_add_f64 v[156:157], v[156:157], v[180:181]
	v_fma_f64 v[180:181], v[196:197], s[12:13], v[190:191]
	v_add_f64 v[176:177], v[168:169], v[176:177]
	v_fma_f64 v[168:169], v[186:187], s[0:1], v[172:173]
	v_fma_f64 v[172:173], v[186:187], s[4:5], v[184:185]
	;; [unrolled: 1-line block ×3, first 2 shown]
	v_add_f64 v[158:159], v[158:159], v[182:183]
	v_add_f64 v[182:183], v[90:91], v[94:95]
	v_add_f64 v[190:191], v[88:89], -v[100:101]
	v_fma_f64 v[178:179], v[194:195], s[0:1], v[180:181]
	v_add_f64 v[180:181], v[98:99], v[96:97]
	v_fma_f64 v[168:169], v[176:177], s[2:3], v[168:169]
	v_fma_f64 v[172:173], v[176:177], s[2:3], v[172:173]
	;; [unrolled: 1-line block ×3, first 2 shown]
	v_add_f64 v[176:177], v[92:93], -v[98:99]
	v_add_f64 v[194:195], v[90:91], -v[94:95]
	v_fma_f64 v[174:175], v[174:175], s[2:3], v[178:179]
	v_add_f64 v[178:179], v[102:103], -v[96:97]
	v_add_f64 v[184:185], v[176:177], v[178:179]
	v_add_f64 v[176:177], v[88:89], -v[90:91]
	v_add_f64 v[178:179], v[100:101], -v[94:95]
	v_add_f64 v[186:187], v[176:177], v[178:179]
	ds_read_b128 v[176:179], v223 offset:3520
	s_waitcnt lgkmcnt(0)
	; wave barrier
	s_waitcnt lgkmcnt(0)
	ds_write_b128 v223, v[104:107]
	ds_write_b128 v223, v[4:7] offset:880
	ds_write_b128 v223, v[108:111] offset:1760
	;; [unrolled: 1-line block ×9, first 2 shown]
	buffer_load_dword v0, off, s[40:43], 0 offset:964 ; 4-byte Folded Reload
	s_waitcnt vmcnt(0)
	ds_write_b128 v0, v[136:139] offset:8800
	ds_write_b128 v0, v[140:143] offset:9680
	ds_write_b128 v0, v[148:151] offset:10560
	ds_write_b128 v0, v[152:155] offset:11440
	ds_write_b128 v0, v[144:147] offset:12320
	buffer_load_dword v0, off, s[40:43], 0 offset:968 ; 4-byte Folded Reload
	v_fma_f64 v[188:189], v[180:181], -0.5, v[176:177]
	v_fma_f64 v[196:197], v[182:183], -0.5, v[178:179]
	v_fma_f64 v[180:181], v[190:191], s[16:17], v[188:189]
	v_fma_f64 v[182:183], v[198:199], s[12:13], v[196:197]
	v_fma_f64 v[188:189], v[190:191], s[12:13], v[188:189]
	v_fma_f64 v[196:197], v[198:199], s[16:17], v[196:197]
	v_fma_f64 v[180:181], v[194:195], s[0:1], v[180:181]
	v_fma_f64 v[182:183], v[200:201], s[4:5], v[182:183]
	v_fma_f64 v[188:189], v[194:195], s[4:5], v[188:189]
	v_fma_f64 v[196:197], v[200:201], s[0:1], v[196:197]
	v_fma_f64 v[180:181], v[184:185], s[2:3], v[180:181]
	v_fma_f64 v[182:183], v[186:187], s[2:3], v[182:183]
	v_fma_f64 v[184:185], v[184:185], s[2:3], v[188:189]
	v_fma_f64 v[186:187], v[186:187], s[2:3], v[196:197]
	v_add_f64 v[188:189], v[92:93], v[102:103]
	v_add_f64 v[196:197], v[88:89], v[100:101]
	v_fma_f64 v[188:189], v[188:189], -0.5, v[176:177]
	v_fma_f64 v[196:197], v[196:197], -0.5, v[178:179]
	v_add_f64 v[176:177], v[176:177], v[92:93]
	v_add_f64 v[178:179], v[178:179], v[88:89]
	v_add_f64 v[92:93], v[98:99], -v[92:93]
	v_add_f64 v[88:89], v[90:91], -v[88:89]
	v_fma_f64 v[202:203], v[194:195], s[12:13], v[188:189]
	v_fma_f64 v[188:189], v[194:195], s[16:17], v[188:189]
	v_add_f64 v[176:177], v[176:177], v[98:99]
	v_add_f64 v[98:99], v[178:179], v[90:91]
	v_add_f64 v[178:179], v[96:97], -v[102:103]
	v_add_f64 v[90:91], v[94:95], -v[100:101]
	v_add_f64 v[176:177], v[176:177], v[96:97]
	v_add_f64 v[98:99], v[98:99], v[94:95]
	v_fma_f64 v[94:95], v[200:201], s[16:17], v[196:197]
	v_add_f64 v[92:93], v[92:93], v[178:179]
	v_add_f64 v[178:179], v[88:89], v[90:91]
	;; [unrolled: 1-line block ×4, first 2 shown]
	v_fma_f64 v[100:101], v[200:201], s[12:13], v[196:197]
	v_fma_f64 v[102:103], v[190:191], s[0:1], v[202:203]
	;; [unrolled: 1-line block ×8, first 2 shown]
	v_mad_u64_u32 v[92:93], s[18:19], s10, v250, 0
	v_fma_f64 v[102:103], v[178:179], s[2:3], v[94:95]
	s_waitcnt vmcnt(0)
	ds_write_b128 v0, v[156:159] offset:13200
	ds_write_b128 v0, v[160:163] offset:14080
	;; [unrolled: 1-line block ×10, first 2 shown]
	s_waitcnt lgkmcnt(0)
	; wave barrier
	s_waitcnt lgkmcnt(0)
	ds_read_b128 v[94:97], v223 offset:4400
	ds_read_b128 v[98:101], v223 offset:13200
	ds_read_b128 v[102:105], v223
	ds_read_b128 v[88:91], v223 offset:880
	ds_read_b128 v[106:109], v223 offset:8800
	;; [unrolled: 1-line block ×8, first 2 shown]
	s_waitcnt lgkmcnt(6)
	v_mul_f64 v[144:145], v[22:23], v[108:109]
	v_mul_f64 v[22:23], v[22:23], v[106:107]
	v_mul_f64 v[142:143], v[18:19], v[96:97]
	v_mul_f64 v[18:19], v[18:19], v[94:95]
	ds_read_b128 v[130:133], v223 offset:14080
	ds_read_b128 v[134:137], v223 offset:14960
	s_waitcnt lgkmcnt(4)
	v_mul_f64 v[148:149], v[34:35], v[124:125]
	ds_read_b128 v[138:141], v223 offset:1760
	ds_read_b128 v[4:7], v223 offset:2640
	v_mul_f64 v[34:35], v[34:35], v[122:123]
	v_fma_f64 v[106:107], v[20:21], v[106:107], v[144:145]
	v_fma_f64 v[108:109], v[20:21], v[108:109], -v[22:23]
	v_mul_f64 v[22:23], v[10:11], v[116:117]
	v_mul_f64 v[144:145], v[10:11], v[114:115]
	v_fma_f64 v[142:143], v[16:17], v[94:95], v[142:143]
	v_fma_f64 v[146:147], v[16:17], v[96:97], -v[18:19]
	v_mul_f64 v[94:95], v[14:15], v[100:101]
	v_mul_f64 v[96:97], v[14:15], v[98:99]
	ds_read_b128 v[18:21], v223 offset:10560
	v_fma_f64 v[122:123], v[32:33], v[122:123], v[148:149]
	v_fma_f64 v[114:115], v[8:9], v[114:115], v[22:23]
	v_fma_f64 v[116:117], v[8:9], v[116:117], -v[144:145]
	v_mul_f64 v[8:9], v[38:39], v[112:113]
	v_mul_f64 v[22:23], v[38:39], v[110:111]
	s_waitcnt lgkmcnt(4)
	v_mul_f64 v[38:39], v[30:31], v[132:133]
	v_mul_f64 v[144:145], v[30:31], v[130:131]
	v_fma_f64 v[98:99], v[12:13], v[98:99], v[94:95]
	v_fma_f64 v[100:101], v[12:13], v[100:101], -v[96:97]
	ds_read_b128 v[10:13], v223 offset:11440
	v_mul_f64 v[148:149], v[26:27], v[120:121]
	v_fma_f64 v[110:111], v[36:37], v[110:111], v[8:9]
	v_mul_f64 v[8:9], v[26:27], v[118:119]
	v_fma_f64 v[130:131], v[28:29], v[130:131], v[38:39]
	v_fma_f64 v[132:133], v[28:29], v[132:133], -v[144:145]
	v_mul_f64 v[38:39], v[50:51], v[128:129]
	v_mul_f64 v[50:51], v[50:51], v[126:127]
	s_waitcnt lgkmcnt(1)
	v_mul_f64 v[144:145], v[54:55], v[20:21]
	ds_read_b128 v[94:97], v223 offset:19360
	v_fma_f64 v[118:119], v[24:25], v[118:119], v[148:149]
	v_fma_f64 v[120:121], v[24:25], v[120:121], -v[8:9]
	v_mul_f64 v[8:9], v[54:55], v[18:19]
	ds_read_b128 v[14:17], v223 offset:12320
	v_fma_f64 v[126:127], v[48:49], v[126:127], v[38:39]
	v_fma_f64 v[128:129], v[48:49], v[128:129], -v[50:51]
	ds_read_b128 v[48:51], v223 offset:16720
	v_fma_f64 v[144:145], v[52:53], v[18:19], v[144:145]
	v_mul_f64 v[18:19], v[46:47], v[136:137]
	v_mul_f64 v[38:39], v[46:47], v[134:135]
	v_fma_f64 v[148:149], v[52:53], v[20:21], -v[8:9]
	s_waitcnt lgkmcnt(2)
	v_mul_f64 v[8:9], v[42:43], v[96:97]
	v_fma_f64 v[124:125], v[32:33], v[124:125], -v[34:35]
	v_fma_f64 v[112:113], v[36:37], v[112:113], -v[22:23]
	ds_read_b128 v[22:25], v223 offset:15840
	ds_read_b128 v[34:37], v223 offset:7040
	;; [unrolled: 1-line block ×3, first 2 shown]
	v_mul_f64 v[42:43], v[42:43], v[94:95]
	ds_read_b128 v[30:33], v223 offset:20240
	v_fma_f64 v[94:95], v[40:41], v[94:95], v[8:9]
	s_waitcnt lgkmcnt(2)
	v_mul_f64 v[46:47], v[70:71], v[36:37]
	v_mul_f64 v[52:53], v[70:71], v[34:35]
	v_fma_f64 v[70:71], v[44:45], v[134:135], v[18:19]
	ds_read_b128 v[18:21], v223 offset:21120
	v_fma_f64 v[134:135], v[44:45], v[136:137], -v[38:39]
	v_mul_f64 v[38:39], v[66:67], v[10:11]
	v_mul_f64 v[8:9], v[62:63], v[24:25]
	;; [unrolled: 1-line block ×3, first 2 shown]
	v_fma_f64 v[96:97], v[40:41], v[96:97], -v[42:43]
	v_fma_f64 v[136:137], v[68:69], v[34:35], v[46:47]
	s_waitcnt lgkmcnt(1)
	v_mul_f64 v[34:35], v[58:59], v[30:31]
	v_mul_f64 v[40:41], v[82:83], v[16:17]
	v_fma_f64 v[44:45], v[68:69], v[36:37], -v[52:53]
	v_fma_f64 v[46:47], v[64:65], v[12:13], -v[38:39]
	v_mul_f64 v[12:13], v[58:59], v[32:33]
	v_fma_f64 v[152:153], v[60:61], v[22:23], v[8:9]
	v_add_f64 v[8:9], v[106:107], v[98:99]
	v_fma_f64 v[150:151], v[64:65], v[10:11], v[54:55]
	v_mul_f64 v[10:11], v[62:63], v[22:23]
	v_mul_f64 v[36:37], v[86:87], v[28:29]
	;; [unrolled: 1-line block ×3, first 2 shown]
	v_fma_f64 v[158:159], v[56:57], v[32:33], -v[34:35]
	v_fma_f64 v[156:157], v[56:57], v[30:31], v[12:13]
	v_fma_f64 v[30:31], v[80:81], v[14:15], v[40:41]
	v_fma_f64 v[8:9], v[8:9], -0.5, v[102:103]
	v_add_f64 v[12:13], v[146:147], -v[116:117]
	v_mul_f64 v[14:15], v[82:83], v[14:15]
	s_waitcnt lgkmcnt(0)
	v_mul_f64 v[34:35], v[74:75], v[18:19]
	v_add_f64 v[52:53], v[142:143], v[114:115]
	v_fma_f64 v[154:155], v[60:61], v[24:25], -v[10:11]
	v_fma_f64 v[32:33], v[84:85], v[26:27], v[36:37]
	v_fma_f64 v[28:29], v[84:85], v[28:29], -v[38:39]
	v_add_f64 v[10:11], v[102:103], v[142:143]
	v_mul_f64 v[22:23], v[78:79], v[50:51]
	v_mul_f64 v[24:25], v[78:79], v[48:49]
	v_mul_f64 v[26:27], v[74:75], v[20:21]
	v_fma_f64 v[54:55], v[12:13], s[16:17], v[8:9]
	v_add_f64 v[56:57], v[108:109], -v[100:101]
	v_fma_f64 v[38:39], v[80:81], v[16:17], -v[14:15]
	v_fma_f64 v[14:15], v[52:53], -0.5, v[102:103]
	v_fma_f64 v[34:35], v[72:73], v[20:21], -v[34:35]
	v_add_f64 v[20:21], v[108:109], v[100:101]
	v_add_f64 v[10:11], v[10:11], v[106:107]
	v_fma_f64 v[40:41], v[76:77], v[48:49], v[22:23]
	v_fma_f64 v[36:37], v[76:77], v[50:51], -v[24:25]
	v_fma_f64 v[42:43], v[72:73], v[18:19], v[26:27]
	v_fma_f64 v[16:17], v[56:57], s[0:1], v[54:55]
	v_add_f64 v[18:19], v[142:143], -v[106:107]
	v_add_f64 v[22:23], v[114:115], -v[98:99]
	v_fma_f64 v[8:9], v[12:13], s[12:13], v[8:9]
	v_fma_f64 v[24:25], v[56:57], s[12:13], v[14:15]
	v_add_f64 v[26:27], v[106:107], -v[142:143]
	v_add_f64 v[48:49], v[98:99], -v[114:115]
	v_fma_f64 v[14:15], v[56:57], s[16:17], v[14:15]
	v_add_f64 v[50:51], v[104:105], v[146:147]
	v_fma_f64 v[52:53], v[20:21], -0.5, v[104:105]
	v_add_f64 v[54:55], v[142:143], -v[114:115]
	v_add_f64 v[10:11], v[10:11], v[98:99]
	v_add_f64 v[18:19], v[18:19], v[22:23]
	v_fma_f64 v[8:9], v[56:57], s[4:5], v[8:9]
	v_fma_f64 v[22:23], v[12:13], s[0:1], v[24:25]
	v_add_f64 v[26:27], v[26:27], v[48:49]
	v_fma_f64 v[12:13], v[12:13], s[4:5], v[14:15]
	v_add_f64 v[14:15], v[146:147], v[116:117]
	v_add_f64 v[48:49], v[50:51], v[108:109]
	v_fma_f64 v[50:51], v[54:55], s[12:13], v[52:53]
	v_add_f64 v[56:57], v[106:107], -v[98:99]
	v_add_f64 v[24:25], v[10:11], v[114:115]
	v_fma_f64 v[20:21], v[18:19], s[2:3], v[16:17]
	v_fma_f64 v[8:9], v[18:19], s[2:3], v[8:9]
	;; [unrolled: 1-line block ×3, first 2 shown]
	v_fma_f64 v[10:11], v[14:15], -0.5, v[104:105]
	v_fma_f64 v[12:13], v[26:27], s[2:3], v[12:13]
	v_add_f64 v[14:15], v[48:49], v[100:101]
	v_fma_f64 v[18:19], v[56:57], s[4:5], v[50:51]
	v_add_f64 v[22:23], v[146:147], -v[108:109]
	v_add_f64 v[26:27], v[110:111], v[130:131]
	v_add_f64 v[48:49], v[116:117], -v[100:101]
	v_fma_f64 v[50:51], v[54:55], s[16:17], v[52:53]
	v_add_f64 v[58:59], v[108:109], -v[146:147]
	v_add_f64 v[60:61], v[100:101], -v[116:117]
	v_fma_f64 v[52:53], v[56:57], s[16:17], v[10:11]
	v_fma_f64 v[10:11], v[56:57], s[12:13], v[10:11]
	v_add_f64 v[62:63], v[88:89], v[122:123]
	v_fma_f64 v[64:65], v[26:27], -0.5, v[88:89]
	v_add_f64 v[66:67], v[124:125], -v[120:121]
	v_add_f64 v[48:49], v[22:23], v[48:49]
	v_fma_f64 v[50:51], v[56:57], s[0:1], v[50:51]
	v_add_f64 v[56:57], v[58:59], v[60:61]
	v_add_f64 v[58:59], v[122:123], v[118:119]
	v_fma_f64 v[52:53], v[54:55], s[4:5], v[52:53]
	v_fma_f64 v[54:55], v[54:55], s[0:1], v[10:11]
	v_add_f64 v[60:61], v[62:63], v[110:111]
	v_fma_f64 v[62:63], v[66:67], s[16:17], v[64:65]
	v_add_f64 v[68:69], v[112:113], -v[132:133]
	v_fma_f64 v[22:23], v[48:49], s[2:3], v[18:19]
	v_fma_f64 v[10:11], v[48:49], s[2:3], v[50:51]
	v_fma_f64 v[48:49], v[58:59], -0.5, v[88:89]
	v_add_f64 v[26:27], v[14:15], v[116:117]
	v_fma_f64 v[18:19], v[56:57], s[2:3], v[52:53]
	v_fma_f64 v[14:15], v[56:57], s[2:3], v[54:55]
	v_add_f64 v[50:51], v[60:61], v[130:131]
	v_fma_f64 v[52:53], v[68:69], s[0:1], v[62:63]
	v_add_f64 v[54:55], v[122:123], -v[110:111]
	v_add_f64 v[56:57], v[112:113], v[132:133]
	v_add_f64 v[58:59], v[118:119], -v[130:131]
	v_fma_f64 v[60:61], v[66:67], s[12:13], v[64:65]
	v_fma_f64 v[62:63], v[68:69], s[12:13], v[48:49]
	v_add_f64 v[64:65], v[110:111], -v[122:123]
	v_add_f64 v[72:73], v[130:131], -v[118:119]
	v_fma_f64 v[48:49], v[68:69], s[16:17], v[48:49]
	v_add_f64 v[74:75], v[90:91], v[124:125]
	v_fma_f64 v[76:77], v[56:57], -0.5, v[90:91]
	v_add_f64 v[78:79], v[122:123], -v[118:119]
	v_add_f64 v[54:55], v[54:55], v[58:59]
	v_fma_f64 v[58:59], v[66:67], s[0:1], v[62:63]
	v_fma_f64 v[56:57], v[68:69], s[4:5], v[60:61]
	v_add_f64 v[62:63], v[64:65], v[72:73]
	v_fma_f64 v[64:65], v[66:67], s[4:5], v[48:49]
	v_add_f64 v[66:67], v[124:125], v[120:121]
	v_add_f64 v[68:69], v[74:75], v[112:113]
	v_fma_f64 v[72:73], v[78:79], s[12:13], v[76:77]
	v_add_f64 v[74:75], v[110:111], -v[130:131]
	v_add_f64 v[48:49], v[50:51], v[118:119]
	v_fma_f64 v[52:53], v[54:55], s[2:3], v[52:53]
	v_fma_f64 v[56:57], v[54:55], s[2:3], v[56:57]
	v_fma_f64 v[60:61], v[62:63], s[2:3], v[58:59]
	v_fma_f64 v[50:51], v[66:67], -0.5, v[90:91]
	v_fma_f64 v[64:65], v[62:63], s[2:3], v[64:65]
	v_add_f64 v[54:55], v[68:69], v[132:133]
	v_fma_f64 v[58:59], v[74:75], s[4:5], v[72:73]
	v_add_f64 v[62:63], v[124:125], -v[112:113]
	v_add_f64 v[66:67], v[144:145], v[70:71]
	v_add_f64 v[68:69], v[120:121], -v[132:133]
	v_fma_f64 v[72:73], v[78:79], s[16:17], v[76:77]
	v_fma_f64 v[76:77], v[74:75], s[16:17], v[50:51]
	v_add_f64 v[80:81], v[112:113], -v[124:125]
	v_add_f64 v[82:83], v[132:133], -v[120:121]
	v_fma_f64 v[50:51], v[74:75], s[12:13], v[50:51]
	v_add_f64 v[84:85], v[138:139], v[126:127]
	v_fma_f64 v[86:87], v[66:67], -0.5, v[138:139]
	v_add_f64 v[88:89], v[128:129], -v[96:97]
	v_add_f64 v[62:63], v[62:63], v[68:69]
	v_fma_f64 v[66:67], v[74:75], s[0:1], v[72:73]
	v_fma_f64 v[68:69], v[78:79], s[4:5], v[76:77]
	v_add_f64 v[72:73], v[80:81], v[82:83]
	v_fma_f64 v[74:75], v[78:79], s[0:1], v[50:51]
	v_add_f64 v[78:79], v[126:127], v[94:95]
	v_add_f64 v[76:77], v[84:85], v[144:145]
	v_fma_f64 v[80:81], v[88:89], s[16:17], v[86:87]
	v_add_f64 v[82:83], v[148:149], -v[134:135]
	v_add_f64 v[50:51], v[54:55], v[120:121]
	v_fma_f64 v[54:55], v[62:63], s[2:3], v[58:59]
	v_fma_f64 v[58:59], v[62:63], s[2:3], v[66:67]
	;; [unrolled: 1-line block ×3, first 2 shown]
	v_fma_f64 v[68:69], v[78:79], -0.5, v[138:139]
	v_fma_f64 v[66:67], v[72:73], s[2:3], v[74:75]
	v_add_f64 v[72:73], v[76:77], v[70:71]
	v_fma_f64 v[74:75], v[82:83], s[0:1], v[80:81]
	v_add_f64 v[76:77], v[126:127], -v[144:145]
	v_add_f64 v[78:79], v[140:141], v[128:129]
	v_add_f64 v[80:81], v[148:149], v[134:135]
	v_add_f64 v[84:85], v[94:95], -v[70:71]
	v_fma_f64 v[86:87], v[88:89], s[12:13], v[86:87]
	v_fma_f64 v[90:91], v[82:83], s[12:13], v[68:69]
	;; [unrolled: 1-line block ×3, first 2 shown]
	v_add_f64 v[98:99], v[144:145], -v[126:127]
	v_add_f64 v[100:101], v[70:71], -v[94:95]
	v_add_f64 v[78:79], v[78:79], v[148:149]
	v_fma_f64 v[102:103], v[80:81], -0.5, v[140:141]
	v_add_f64 v[104:105], v[126:127], -v[94:95]
	v_add_f64 v[76:77], v[76:77], v[84:85]
	v_fma_f64 v[80:81], v[82:83], s[4:5], v[86:87]
	v_fma_f64 v[82:83], v[88:89], s[0:1], v[90:91]
	;; [unrolled: 1-line block ×3, first 2 shown]
	v_add_f64 v[88:89], v[128:129], v[96:97]
	v_add_f64 v[84:85], v[98:99], v[100:101]
	;; [unrolled: 1-line block ×3, first 2 shown]
	v_fma_f64 v[90:91], v[104:105], s[12:13], v[102:103]
	v_add_f64 v[98:99], v[144:145], -v[70:71]
	v_add_f64 v[68:69], v[72:73], v[94:95]
	v_fma_f64 v[72:73], v[76:77], s[2:3], v[74:75]
	v_fma_f64 v[76:77], v[76:77], s[2:3], v[80:81]
	v_fma_f64 v[74:75], v[88:89], -0.5, v[140:141]
	v_fma_f64 v[80:81], v[84:85], s[2:3], v[82:83]
	v_fma_f64 v[84:85], v[84:85], s[2:3], v[86:87]
	v_add_f64 v[70:71], v[78:79], v[96:97]
	v_fma_f64 v[78:79], v[98:99], s[4:5], v[90:91]
	v_add_f64 v[82:83], v[128:129], -v[148:149]
	v_add_f64 v[86:87], v[96:97], -v[134:135]
	v_add_f64 v[88:89], v[4:5], v[136:137]
	v_fma_f64 v[90:91], v[104:105], s[16:17], v[102:103]
	v_add_f64 v[94:95], v[150:151], v[152:153]
	v_fma_f64 v[100:101], v[98:99], s[16:17], v[74:75]
	v_add_f64 v[102:103], v[148:149], -v[128:129]
	v_add_f64 v[96:97], v[134:135], -v[96:97]
	v_fma_f64 v[74:75], v[98:99], s[12:13], v[74:75]
	v_add_f64 v[82:83], v[82:83], v[86:87]
	v_add_f64 v[86:87], v[88:89], v[150:151]
	v_fma_f64 v[88:89], v[98:99], s[0:1], v[90:91]
	v_fma_f64 v[90:91], v[94:95], -0.5, v[4:5]
	v_fma_f64 v[94:95], v[104:105], s[4:5], v[100:101]
	v_add_f64 v[98:99], v[44:45], -v[158:159]
	v_add_f64 v[96:97], v[102:103], v[96:97]
	v_add_f64 v[102:103], v[136:137], v[156:157]
	v_fma_f64 v[100:101], v[104:105], s[0:1], v[74:75]
	v_fma_f64 v[74:75], v[82:83], s[2:3], v[78:79]
	;; [unrolled: 1-line block ×3, first 2 shown]
	v_add_f64 v[106:107], v[46:47], -v[154:155]
	v_add_f64 v[104:105], v[86:87], v[152:153]
	v_fma_f64 v[88:89], v[98:99], s[16:17], v[90:91]
	v_fma_f64 v[82:83], v[96:97], s[2:3], v[94:95]
	v_fma_f64 v[94:95], v[102:103], -0.5, v[4:5]
	v_fma_f64 v[86:87], v[96:97], s[2:3], v[100:101]
	v_add_f64 v[96:97], v[136:137], -v[150:151]
	v_add_f64 v[100:101], v[156:157], -v[152:153]
	v_fma_f64 v[90:91], v[98:99], s[12:13], v[90:91]
	v_add_f64 v[110:111], v[150:151], -v[136:137]
	v_add_f64 v[112:113], v[152:153], -v[156:157]
	v_add_f64 v[4:5], v[104:105], v[156:157]
	v_fma_f64 v[108:109], v[106:107], s[12:13], v[94:95]
	v_add_f64 v[102:103], v[6:7], v[44:45]
	v_add_f64 v[104:105], v[46:47], v[154:155]
	;; [unrolled: 1-line block ×3, first 2 shown]
	v_fma_f64 v[90:91], v[106:107], s[4:5], v[90:91]
	v_fma_f64 v[100:101], v[106:107], s[16:17], v[94:95]
	v_add_f64 v[110:111], v[110:111], v[112:113]
	v_fma_f64 v[88:89], v[106:107], s[0:1], v[88:89]
	v_fma_f64 v[108:109], v[98:99], s[0:1], v[108:109]
	v_add_f64 v[102:103], v[102:103], v[46:47]
	v_fma_f64 v[104:105], v[104:105], -0.5, v[6:7]
	v_add_f64 v[106:107], v[136:137], -v[156:157]
	v_fma_f64 v[94:95], v[96:97], s[2:3], v[90:91]
	v_fma_f64 v[90:91], v[98:99], s[4:5], v[100:101]
	v_add_f64 v[100:101], v[44:45], v[158:159]
	v_fma_f64 v[88:89], v[96:97], s[2:3], v[88:89]
	v_fma_f64 v[98:99], v[110:111], s[2:3], v[108:109]
	v_add_f64 v[108:109], v[30:31], v[40:41]
	v_add_f64 v[96:97], v[102:103], v[154:155]
	v_fma_f64 v[112:113], v[106:107], s[12:13], v[104:105]
	v_add_f64 v[114:115], v[150:151], -v[152:153]
	v_add_f64 v[116:117], v[44:45], -v[46:47]
	v_add_f64 v[118:119], v[158:159], -v[154:155]
	v_fma_f64 v[102:103], v[110:111], s[2:3], v[90:91]
	v_fma_f64 v[90:91], v[100:101], -0.5, v[6:7]
	v_add_f64 v[100:101], v[0:1], v[32:33]
	v_fma_f64 v[108:109], v[108:109], -0.5, v[0:1]
	v_add_f64 v[110:111], v[28:29], -v[34:35]
	v_fma_f64 v[104:105], v[106:107], s[16:17], v[104:105]
	v_add_f64 v[6:7], v[96:97], v[158:159]
	v_fma_f64 v[96:97], v[114:115], s[4:5], v[112:113]
	v_add_f64 v[112:113], v[116:117], v[118:119]
	v_fma_f64 v[116:117], v[114:115], s[16:17], v[90:91]
	v_add_f64 v[44:45], v[46:47], -v[44:45]
	v_add_f64 v[46:47], v[154:155], -v[158:159]
	v_fma_f64 v[90:91], v[114:115], s[12:13], v[90:91]
	v_add_f64 v[100:101], v[100:101], v[30:31]
	v_fma_f64 v[118:119], v[110:111], s[16:17], v[108:109]
	v_add_f64 v[120:121], v[38:39], -v[36:37]
	v_add_f64 v[122:123], v[32:33], -v[30:31]
	;; [unrolled: 1-line block ×3, first 2 shown]
	v_fma_f64 v[104:105], v[114:115], s[0:1], v[104:105]
	v_add_f64 v[114:115], v[32:33], v[42:43]
	v_fma_f64 v[116:117], v[106:107], s[4:5], v[116:117]
	v_add_f64 v[44:45], v[44:45], v[46:47]
	;; [unrolled: 2-line block ×4, first 2 shown]
	v_fma_f64 v[90:91], v[112:113], s[2:3], v[96:97]
	v_fma_f64 v[114:115], v[114:115], -0.5, v[0:1]
	v_fma_f64 v[96:97], v[112:113], s[2:3], v[104:105]
	v_fma_f64 v[100:101], v[44:45], s[2:3], v[116:117]
	;; [unrolled: 1-line block ×3, first 2 shown]
	v_add_f64 v[46:47], v[38:39], v[36:37]
	v_add_f64 v[116:117], v[28:29], v[34:35]
	;; [unrolled: 1-line block ×3, first 2 shown]
	v_fma_f64 v[44:45], v[122:123], s[2:3], v[118:119]
	v_fma_f64 v[106:107], v[110:111], s[12:13], v[108:109]
	;; [unrolled: 1-line block ×3, first 2 shown]
	v_add_f64 v[112:113], v[30:31], -v[32:33]
	v_add_f64 v[118:119], v[40:41], -v[42:43]
	v_add_f64 v[124:125], v[2:3], v[28:29]
	v_fma_f64 v[46:47], v[46:47], -0.5, v[2:3]
	v_add_f64 v[32:33], v[32:33], -v[42:43]
	v_add_f64 v[30:31], v[30:31], -v[40:41]
	v_fma_f64 v[2:3], v[116:117], -0.5, v[2:3]
	v_fma_f64 v[42:43], v[120:121], s[4:5], v[106:107]
	v_fma_f64 v[106:107], v[110:111], s[0:1], v[108:109]
	v_add_f64 v[40:41], v[112:113], v[118:119]
	v_fma_f64 v[108:109], v[120:121], s[16:17], v[114:115]
	v_add_f64 v[112:113], v[124:125], v[38:39]
	v_fma_f64 v[114:115], v[32:33], s[12:13], v[46:47]
	v_add_f64 v[116:117], v[28:29], -v[38:39]
	v_add_f64 v[118:119], v[34:35], -v[36:37]
	v_fma_f64 v[46:47], v[32:33], s[16:17], v[46:47]
	v_fma_f64 v[120:121], v[30:31], s[16:17], v[2:3]
	v_add_f64 v[28:29], v[38:39], -v[28:29]
	v_add_f64 v[38:39], v[36:37], -v[34:35]
	v_fma_f64 v[2:3], v[30:31], s[12:13], v[2:3]
	v_fma_f64 v[108:109], v[110:111], s[4:5], v[108:109]
	v_add_f64 v[110:111], v[112:113], v[36:37]
	v_fma_f64 v[112:113], v[30:31], s[4:5], v[114:115]
	v_add_f64 v[114:115], v[116:117], v[118:119]
	v_fma_f64 v[30:31], v[30:31], s[0:1], v[46:47]
	v_fma_f64 v[116:117], v[32:33], s[4:5], v[120:121]
	v_add_f64 v[38:39], v[28:29], v[38:39]
	v_fma_f64 v[118:119], v[32:33], s[0:1], v[2:3]
	;; [unrolled: 3-line block ×3, first 2 shown]
	v_fma_f64 v[36:37], v[40:41], s[2:3], v[108:109]
	v_fma_f64 v[46:47], v[114:115], s[2:3], v[112:113]
	;; [unrolled: 1-line block ×5, first 2 shown]
	ds_write_b128 v223, v[24:27]
	ds_write_b128 v223, v[20:23] offset:4400
	ds_write_b128 v223, v[16:19] offset:8800
	;; [unrolled: 1-line block ×24, first 2 shown]
	s_waitcnt lgkmcnt(0)
	; wave barrier
	s_waitcnt lgkmcnt(0)
	ds_read_b128 v[0:3], v223
	buffer_load_dword v13, off, s[40:43], 0 offset:160 ; 4-byte Folded Reload
	buffer_load_dword v14, off, s[40:43], 0 offset:164 ; 4-byte Folded Reload
	buffer_load_dword v15, off, s[40:43], 0 offset:168 ; 4-byte Folded Reload
	buffer_load_dword v16, off, s[40:43], 0 offset:172 ; 4-byte Folded Reload
	v_mov_b32_e32 v4, v93
	v_mad_u64_u32 v[10:11], s[0:1], s11, v250, v[4:5]
	v_mad_u64_u32 v[20:21], s[0:1], s8, v254, 0
	ds_read_b128 v[4:7], v223 offset:880
	s_mov_b32 s2, 0x4a19b16e
	s_mov_b32 s3, 0x3f47d4ce
	v_mov_b32_e32 v93, v10
	s_waitcnt vmcnt(0) lgkmcnt(1)
	v_mul_f64 v[8:9], v[15:16], v[2:3]
	v_mul_f64 v[11:12], v[15:16], v[0:1]
	v_fma_f64 v[0:1], v[13:14], v[0:1], v[8:9]
	v_mov_b32_e32 v8, v21
	v_mad_u64_u32 v[16:17], s[0:1], s9, v254, v[8:9]
	v_fma_f64 v[2:3], v[13:14], v[2:3], -v[11:12]
	ds_read_b128 v[12:15], v223 offset:2000
	v_mov_b32_e32 v21, v16
	ds_read_b128 v[16:19], v223 offset:2880
	buffer_load_dword v26, off, s[40:43], 0 offset:144 ; 4-byte Folded Reload
	buffer_load_dword v27, off, s[40:43], 0 offset:148 ; 4-byte Folded Reload
	;; [unrolled: 1-line block ×4, first 2 shown]
	v_mul_f64 v[8:9], v[0:1], s[2:3]
	v_lshlrev_b64 v[0:1], 4, v[92:93]
	v_mul_f64 v[10:11], v[2:3], s[2:3]
	v_mov_b32_e32 v3, s15
	v_add_co_u32_e64 v2, s[0:1], s14, v0
	v_addc_co_u32_e64 v3, s[0:1], v3, v1, s[0:1]
	v_lshlrev_b64 v[0:1], 4, v[20:21]
	v_add_co_u32_e64 v0, s[0:1], v2, v0
	v_addc_co_u32_e64 v1, s[0:1], v3, v1, s[0:1]
	global_store_dwordx4 v[0:1], v[8:11], off
	ds_read_b128 v[8:11], v223 offset:4000
	s_mul_i32 s0, s9, 0x7d
	s_mul_hi_u32 s1, s8, 0x7d
	s_add_i32 s1, s1, s0
	s_mul_i32 s0, s8, 0x7d
	s_lshl_b64 s[4:5], s[0:1], 4
	v_mov_b32_e32 v64, s5
	v_add_co_u32_e64 v0, s[0:1], s4, v0
	v_addc_co_u32_e64 v1, s[0:1], v1, v64, s[0:1]
	s_waitcnt vmcnt(1) lgkmcnt(2)
	v_mul_f64 v[22:23], v[28:29], v[14:15]
	v_mul_f64 v[24:25], v[28:29], v[12:13]
	v_fma_f64 v[12:13], v[26:27], v[12:13], v[22:23]
	ds_read_b128 v[20:23], v223 offset:4880
	buffer_load_dword v32, off, s[40:43], 0 offset:128 ; 4-byte Folded Reload
	buffer_load_dword v33, off, s[40:43], 0 offset:132 ; 4-byte Folded Reload
	;; [unrolled: 1-line block ×4, first 2 shown]
	v_fma_f64 v[14:15], v[26:27], v[14:15], -v[24:25]
	ds_read_b128 v[24:27], v223 offset:6000
	v_mul_f64 v[12:13], v[12:13], s[2:3]
	v_mul_f64 v[14:15], v[14:15], s[2:3]
	s_waitcnt vmcnt(0) lgkmcnt(2)
	v_mul_f64 v[28:29], v[34:35], v[10:11]
	v_mul_f64 v[30:31], v[34:35], v[8:9]
	v_fma_f64 v[28:29], v[32:33], v[8:9], v[28:29]
	v_fma_f64 v[32:33], v[32:33], v[10:11], -v[30:31]
	ds_read_b128 v[8:11], v223 offset:6880
	buffer_load_dword v38, off, s[40:43], 0 offset:208 ; 4-byte Folded Reload
	buffer_load_dword v39, off, s[40:43], 0 offset:212 ; 4-byte Folded Reload
	buffer_load_dword v40, off, s[40:43], 0 offset:216 ; 4-byte Folded Reload
	buffer_load_dword v41, off, s[40:43], 0 offset:220 ; 4-byte Folded Reload
	s_waitcnt vmcnt(0) lgkmcnt(1)
	v_mul_f64 v[34:35], v[40:41], v[26:27]
	v_mul_f64 v[36:37], v[40:41], v[24:25]
	global_store_dwordx4 v[0:1], v[12:15], off
	v_add_co_u32_e64 v0, s[0:1], s4, v0
	v_mul_f64 v[12:13], v[28:29], s[2:3]
	ds_read_b128 v[28:31], v223 offset:8000
	v_mul_f64 v[14:15], v[32:33], s[2:3]
	v_fma_f64 v[32:33], v[38:39], v[24:25], v[34:35]
	v_fma_f64 v[36:37], v[38:39], v[26:27], -v[36:37]
	ds_read_b128 v[24:27], v223 offset:8880
	buffer_load_dword v42, off, s[40:43], 0 offset:176 ; 4-byte Folded Reload
	buffer_load_dword v43, off, s[40:43], 0 offset:180 ; 4-byte Folded Reload
	buffer_load_dword v44, off, s[40:43], 0 offset:184 ; 4-byte Folded Reload
	buffer_load_dword v45, off, s[40:43], 0 offset:188 ; 4-byte Folded Reload
	v_addc_co_u32_e64 v1, s[0:1], v1, v64, s[0:1]
	global_store_dwordx4 v[0:1], v[12:15], off
	s_nop 0
	v_mul_f64 v[12:13], v[32:33], s[2:3]
	ds_read_b128 v[32:35], v223 offset:10000
	v_mul_f64 v[14:15], v[36:37], s[2:3]
	v_add_co_u32_e64 v0, s[0:1], s4, v0
	v_addc_co_u32_e64 v1, s[0:1], v1, v64, s[0:1]
	s_waitcnt vmcnt(1) lgkmcnt(2)
	v_mul_f64 v[38:39], v[44:45], v[30:31]
	v_mul_f64 v[40:41], v[44:45], v[28:29]
	v_fma_f64 v[36:37], v[42:43], v[28:29], v[38:39]
	v_fma_f64 v[40:41], v[42:43], v[30:31], -v[40:41]
	ds_read_b128 v[28:31], v223 offset:10880
	buffer_load_dword v46, off, s[40:43], 0 offset:192 ; 4-byte Folded Reload
	buffer_load_dword v47, off, s[40:43], 0 offset:196 ; 4-byte Folded Reload
	buffer_load_dword v48, off, s[40:43], 0 offset:200 ; 4-byte Folded Reload
	buffer_load_dword v49, off, s[40:43], 0 offset:204 ; 4-byte Folded Reload
	s_waitcnt vmcnt(0) lgkmcnt(1)
	v_mul_f64 v[42:43], v[48:49], v[34:35]
	v_mul_f64 v[44:45], v[48:49], v[32:33]
	global_store_dwordx4 v[0:1], v[12:15], off
	v_add_co_u32_e64 v0, s[0:1], s4, v0
	v_mul_f64 v[12:13], v[36:37], s[2:3]
	ds_read_b128 v[36:39], v223 offset:12000
	v_mul_f64 v[14:15], v[40:41], s[2:3]
	v_fma_f64 v[40:41], v[46:47], v[32:33], v[42:43]
	v_fma_f64 v[44:45], v[46:47], v[34:35], -v[44:45]
	ds_read_b128 v[32:35], v223 offset:12880
	buffer_load_dword v50, off, s[40:43], 0 offset:464 ; 4-byte Folded Reload
	buffer_load_dword v51, off, s[40:43], 0 offset:468 ; 4-byte Folded Reload
	buffer_load_dword v52, off, s[40:43], 0 offset:472 ; 4-byte Folded Reload
	buffer_load_dword v53, off, s[40:43], 0 offset:476 ; 4-byte Folded Reload
	v_addc_co_u32_e64 v1, s[0:1], v1, v64, s[0:1]
	global_store_dwordx4 v[0:1], v[12:15], off
	s_nop 0
	v_mul_f64 v[12:13], v[40:41], s[2:3]
	ds_read_b128 v[40:43], v223 offset:14000
	v_mul_f64 v[14:15], v[44:45], s[2:3]
	v_add_co_u32_e64 v0, s[0:1], s4, v0
	v_addc_co_u32_e64 v1, s[0:1], v1, v64, s[0:1]
	;; [unrolled: 33-line block ×3, first 2 shown]
	s_waitcnt vmcnt(1) lgkmcnt(2)
	v_mul_f64 v[54:55], v[60:61], v[46:47]
	v_mul_f64 v[56:57], v[60:61], v[44:45]
	v_fma_f64 v[52:53], v[58:59], v[44:45], v[54:55]
	v_fma_f64 v[56:57], v[58:59], v[46:47], -v[56:57]
	ds_read_b128 v[44:47], v223 offset:18880
	buffer_load_dword v65, off, s[40:43], 0 offset:368 ; 4-byte Folded Reload
	buffer_load_dword v66, off, s[40:43], 0 offset:372 ; 4-byte Folded Reload
	;; [unrolled: 1-line block ×4, first 2 shown]
	s_waitcnt vmcnt(0) lgkmcnt(1)
	v_mul_f64 v[58:59], v[67:68], v[50:51]
	v_mul_f64 v[60:61], v[67:68], v[48:49]
	global_store_dwordx4 v[0:1], v[12:15], off
	v_add_co_u32_e64 v0, s[0:1], s4, v0
	v_mul_f64 v[12:13], v[52:53], s[2:3]
	ds_read_b128 v[52:55], v223 offset:20000
	v_mul_f64 v[14:15], v[56:57], s[2:3]
	v_fma_f64 v[56:57], v[65:66], v[48:49], v[58:59]
	v_fma_f64 v[58:59], v[65:66], v[50:51], -v[60:61]
	ds_read_b128 v[48:51], v223 offset:20880
	buffer_load_dword v65, off, s[40:43], 0 offset:320 ; 4-byte Folded Reload
	buffer_load_dword v66, off, s[40:43], 0 offset:324 ; 4-byte Folded Reload
	;; [unrolled: 1-line block ×4, first 2 shown]
	v_addc_co_u32_e64 v1, s[0:1], v1, v64, s[0:1]
	global_store_dwordx4 v[0:1], v[12:15], off
	s_nop 0
	v_mul_f64 v[12:13], v[56:57], s[2:3]
	v_mul_f64 v[14:15], v[58:59], s[2:3]
	v_add_co_u32_e64 v0, s[0:1], s4, v0
	v_addc_co_u32_e64 v1, s[0:1], v1, v64, s[0:1]
	s_waitcnt vmcnt(1) lgkmcnt(1)
	v_mul_f64 v[60:61], v[67:68], v[54:55]
	v_mul_f64 v[62:63], v[67:68], v[52:53]
	v_fma_f64 v[52:53], v[65:66], v[52:53], v[60:61]
	v_fma_f64 v[54:55], v[65:66], v[54:55], -v[62:63]
	buffer_load_dword v60, off, s[40:43], 0 offset:288 ; 4-byte Folded Reload
	buffer_load_dword v61, off, s[40:43], 0 offset:292 ; 4-byte Folded Reload
	;; [unrolled: 1-line block ×4, first 2 shown]
	v_mul_f64 v[52:53], v[52:53], s[2:3]
	v_mul_f64 v[54:55], v[54:55], s[2:3]
	global_store_dwordx4 v[0:1], v[12:15], off
	v_add_co_u32_e64 v0, s[0:1], s4, v0
	v_addc_co_u32_e64 v1, s[0:1], v1, v64, s[0:1]
	s_mul_hi_u32 s1, s8, 0xfffffb55
	s_mul_i32 s0, s9, 0xfffffb55
	global_store_dwordx4 v[0:1], v[52:55], off
	s_sub_i32 s1, s1, s8
	s_add_i32 s1, s1, s0
	s_mul_i32 s0, s8, 0xfffffb55
	s_lshl_b64 s[10:11], s[0:1], 4
	v_mov_b32_e32 v52, s11
	v_add_co_u32_e64 v0, s[0:1], s10, v0
	v_addc_co_u32_e64 v1, s[0:1], v1, v52, s[0:1]
	s_waitcnt vmcnt(2)
	v_mul_f64 v[56:57], v[62:63], v[6:7]
	v_mul_f64 v[58:59], v[62:63], v[4:5]
	v_fma_f64 v[4:5], v[60:61], v[4:5], v[56:57]
	buffer_load_dword v53, off, s[40:43], 0 offset:272 ; 4-byte Folded Reload
	buffer_load_dword v54, off, s[40:43], 0 offset:276 ; 4-byte Folded Reload
	;; [unrolled: 1-line block ×4, first 2 shown]
	v_fma_f64 v[6:7], v[60:61], v[6:7], -v[58:59]
	v_mul_f64 v[4:5], v[4:5], s[2:3]
	v_mul_f64 v[6:7], v[6:7], s[2:3]
	s_waitcnt vmcnt(0)
	v_mul_f64 v[12:13], v[55:56], v[18:19]
	v_mul_f64 v[14:15], v[55:56], v[16:17]
	v_fma_f64 v[12:13], v[53:54], v[16:17], v[12:13]
	v_fma_f64 v[14:15], v[53:54], v[18:19], -v[14:15]
	buffer_load_dword v53, off, s[40:43], 0 offset:256 ; 4-byte Folded Reload
	buffer_load_dword v54, off, s[40:43], 0 offset:260 ; 4-byte Folded Reload
	buffer_load_dword v55, off, s[40:43], 0 offset:264 ; 4-byte Folded Reload
	buffer_load_dword v56, off, s[40:43], 0 offset:268 ; 4-byte Folded Reload
	s_waitcnt vmcnt(0)
	v_mul_f64 v[16:17], v[55:56], v[22:23]
	v_mul_f64 v[18:19], v[55:56], v[20:21]
	global_store_dwordx4 v[0:1], v[4:7], off
	v_add_co_u32_e64 v0, s[0:1], s4, v0
	v_mul_f64 v[4:5], v[12:13], s[2:3]
	v_mul_f64 v[6:7], v[14:15], s[2:3]
	v_addc_co_u32_e64 v1, s[0:1], v1, v64, s[0:1]
	v_fma_f64 v[12:13], v[53:54], v[20:21], v[16:17]
	v_fma_f64 v[14:15], v[53:54], v[22:23], -v[18:19]
	buffer_load_dword v20, off, s[40:43], 0 offset:240 ; 4-byte Folded Reload
	buffer_load_dword v21, off, s[40:43], 0 offset:244 ; 4-byte Folded Reload
	buffer_load_dword v22, off, s[40:43], 0 offset:248 ; 4-byte Folded Reload
	buffer_load_dword v23, off, s[40:43], 0 offset:252 ; 4-byte Folded Reload
	s_waitcnt vmcnt(0)
	v_mul_f64 v[16:17], v[22:23], v[10:11]
	v_mul_f64 v[18:19], v[22:23], v[8:9]
	global_store_dwordx4 v[0:1], v[4:7], off
	v_add_co_u32_e64 v0, s[0:1], s4, v0
	v_mul_f64 v[4:5], v[12:13], s[2:3]
	v_mul_f64 v[6:7], v[14:15], s[2:3]
	v_addc_co_u32_e64 v1, s[0:1], v1, v64, s[0:1]
	;; [unrolled: 14-line block ×6, first 2 shown]
	v_fma_f64 v[8:9], v[16:17], v[36:37], v[12:13]
	v_fma_f64 v[10:11], v[16:17], v[38:39], -v[14:15]
	buffer_load_dword v16, off, s[40:43], 0 offset:384 ; 4-byte Folded Reload
	buffer_load_dword v17, off, s[40:43], 0 offset:388 ; 4-byte Folded Reload
	;; [unrolled: 1-line block ×4, first 2 shown]
	s_waitcnt vmcnt(0)
	v_mul_f64 v[12:13], v[18:19], v[42:43]
	global_store_dwordx4 v[0:1], v[4:7], off
	buffer_load_dword v20, off, s[40:43], 0 offset:400 ; 4-byte Folded Reload
	buffer_load_dword v21, off, s[40:43], 0 offset:404 ; 4-byte Folded Reload
	;; [unrolled: 1-line block ×4, first 2 shown]
	v_mul_f64 v[14:15], v[18:19], v[40:41]
	v_mul_f64 v[4:5], v[8:9], s[2:3]
	v_mul_f64 v[6:7], v[10:11], s[2:3]
	v_add_co_u32_e64 v0, s[0:1], s4, v0
	v_fma_f64 v[8:9], v[16:17], v[40:41], v[12:13]
	v_addc_co_u32_e64 v1, s[0:1], v1, v64, s[0:1]
	v_fma_f64 v[10:11], v[16:17], v[42:43], -v[14:15]
	s_waitcnt vmcnt(0)
	v_mul_f64 v[12:13], v[22:23], v[46:47]
	v_mul_f64 v[14:15], v[22:23], v[44:45]
	buffer_load_dword v22, off, s[40:43], 0 offset:432 ; 4-byte Folded Reload
	buffer_load_dword v23, off, s[40:43], 0 offset:436 ; 4-byte Folded Reload
	;; [unrolled: 1-line block ×4, first 2 shown]
	s_waitcnt vmcnt(0) lgkmcnt(0)
	v_mul_f64 v[16:17], v[24:25], v[50:51]
	v_mul_f64 v[18:19], v[24:25], v[48:49]
	global_store_dwordx4 v[0:1], v[4:7], off
	v_add_co_u32_e64 v0, s[0:1], s4, v0
	v_mul_f64 v[4:5], v[8:9], s[2:3]
	v_mul_f64 v[6:7], v[10:11], s[2:3]
	v_fma_f64 v[8:9], v[20:21], v[44:45], v[12:13]
	v_fma_f64 v[10:11], v[20:21], v[46:47], -v[14:15]
	v_fma_f64 v[12:13], v[22:23], v[48:49], v[16:17]
	v_fma_f64 v[14:15], v[22:23], v[50:51], -v[18:19]
	v_addc_co_u32_e64 v1, s[0:1], v1, v64, s[0:1]
	global_store_dwordx4 v[0:1], v[4:7], off
	v_mul_f64 v[8:9], v[8:9], s[2:3]
	v_mul_f64 v[10:11], v[10:11], s[2:3]
	;; [unrolled: 1-line block ×4, first 2 shown]
	v_add_co_u32_e64 v0, s[0:1], s4, v0
	v_addc_co_u32_e64 v1, s[0:1], v1, v64, s[0:1]
	global_store_dwordx4 v[0:1], v[8:11], off
	v_add_co_u32_e64 v0, s[0:1], s4, v0
	v_addc_co_u32_e64 v1, s[0:1], v1, v64, s[0:1]
	global_store_dwordx4 v[0:1], v[4:7], off
	s_and_b64 exec, exec, vcc
	s_cbranch_execz .LBB0_15
; %bb.14:
	global_load_dwordx4 v[4:7], v[192:193], off offset:1760
	ds_read_b128 v[8:11], v223 offset:1760
	ds_read_b128 v[12:15], v223 offset:3760
	v_add_co_u32_e32 v0, vcc, s10, v0
	s_movk_i32 s0, 0x1000
	v_mov_b32_e32 v20, s5
	s_waitcnt vmcnt(0) lgkmcnt(1)
	v_mul_f64 v[16:17], v[10:11], v[6:7]
	v_mul_f64 v[6:7], v[8:9], v[6:7]
	v_fma_f64 v[8:9], v[8:9], v[4:5], v[16:17]
	v_fma_f64 v[6:7], v[4:5], v[10:11], -v[6:7]
	v_mul_f64 v[4:5], v[8:9], s[2:3]
	v_mul_f64 v[6:7], v[6:7], s[2:3]
	v_mov_b32_e32 v8, s11
	v_addc_co_u32_e32 v1, vcc, v1, v8, vcc
	v_add_co_u32_e32 v16, vcc, s0, v192
	v_addc_co_u32_e32 v17, vcc, 0, v193, vcc
	global_store_dwordx4 v[0:1], v[4:7], off
	global_load_dwordx4 v[4:7], v[192:193], off offset:3760
	v_add_co_u32_e32 v0, vcc, s4, v0
	v_addc_co_u32_e32 v1, vcc, v1, v20, vcc
	s_movk_i32 s0, 0x2000
	s_waitcnt vmcnt(0) lgkmcnt(0)
	v_mul_f64 v[8:9], v[14:15], v[6:7]
	v_mul_f64 v[6:7], v[12:13], v[6:7]
	v_fma_f64 v[8:9], v[12:13], v[4:5], v[8:9]
	v_fma_f64 v[6:7], v[4:5], v[14:15], -v[6:7]
	v_mul_f64 v[4:5], v[8:9], s[2:3]
	v_mul_f64 v[6:7], v[6:7], s[2:3]
	global_store_dwordx4 v[0:1], v[4:7], off
	global_load_dwordx4 v[4:7], v[16:17], off offset:1664
	ds_read_b128 v[8:11], v223 offset:5760
	ds_read_b128 v[12:15], v223 offset:7760
	v_add_co_u32_e32 v0, vcc, s4, v0
	v_addc_co_u32_e32 v1, vcc, v1, v20, vcc
	s_waitcnt vmcnt(0) lgkmcnt(1)
	v_mul_f64 v[18:19], v[10:11], v[6:7]
	v_mul_f64 v[6:7], v[8:9], v[6:7]
	v_fma_f64 v[8:9], v[8:9], v[4:5], v[18:19]
	v_fma_f64 v[6:7], v[4:5], v[10:11], -v[6:7]
	v_mul_f64 v[4:5], v[8:9], s[2:3]
	v_mul_f64 v[6:7], v[6:7], s[2:3]
	global_store_dwordx4 v[0:1], v[4:7], off
	global_load_dwordx4 v[4:7], v[16:17], off offset:3664
	v_add_co_u32_e32 v16, vcc, s0, v192
	v_addc_co_u32_e32 v17, vcc, 0, v193, vcc
	v_add_co_u32_e32 v0, vcc, s4, v0
	v_addc_co_u32_e32 v1, vcc, v1, v20, vcc
	s_movk_i32 s0, 0x3000
	s_waitcnt vmcnt(0) lgkmcnt(0)
	v_mul_f64 v[8:9], v[14:15], v[6:7]
	v_mul_f64 v[6:7], v[12:13], v[6:7]
	v_fma_f64 v[8:9], v[12:13], v[4:5], v[8:9]
	v_fma_f64 v[6:7], v[4:5], v[14:15], -v[6:7]
	v_mul_f64 v[4:5], v[8:9], s[2:3]
	v_mul_f64 v[6:7], v[6:7], s[2:3]
	global_store_dwordx4 v[0:1], v[4:7], off
	global_load_dwordx4 v[4:7], v[16:17], off offset:1568
	ds_read_b128 v[8:11], v223 offset:9760
	ds_read_b128 v[12:15], v223 offset:11760
	v_add_co_u32_e32 v0, vcc, s4, v0
	v_addc_co_u32_e32 v1, vcc, v1, v20, vcc
	s_waitcnt vmcnt(0) lgkmcnt(1)
	v_mul_f64 v[18:19], v[10:11], v[6:7]
	v_mul_f64 v[6:7], v[8:9], v[6:7]
	v_fma_f64 v[8:9], v[8:9], v[4:5], v[18:19]
	v_fma_f64 v[6:7], v[4:5], v[10:11], -v[6:7]
	v_mul_f64 v[4:5], v[8:9], s[2:3]
	v_mul_f64 v[6:7], v[6:7], s[2:3]
	global_store_dwordx4 v[0:1], v[4:7], off
	global_load_dwordx4 v[4:7], v[16:17], off offset:3568
	v_add_co_u32_e32 v16, vcc, s0, v192
	v_addc_co_u32_e32 v17, vcc, 0, v193, vcc
	;; [unrolled: 27-line block ×3, first 2 shown]
	v_add_co_u32_e32 v0, vcc, s4, v0
	v_addc_co_u32_e32 v1, vcc, v1, v20, vcc
	s_waitcnt vmcnt(0) lgkmcnt(0)
	v_mul_f64 v[8:9], v[14:15], v[6:7]
	v_mul_f64 v[6:7], v[12:13], v[6:7]
	v_fma_f64 v[8:9], v[12:13], v[4:5], v[8:9]
	v_fma_f64 v[6:7], v[4:5], v[14:15], -v[6:7]
	v_mul_f64 v[4:5], v[8:9], s[2:3]
	v_mul_f64 v[6:7], v[6:7], s[2:3]
	global_store_dwordx4 v[0:1], v[4:7], off
	global_load_dwordx4 v[4:7], v[16:17], off offset:1376
	ds_read_b128 v[8:11], v223 offset:17760
	ds_read_b128 v[12:15], v223 offset:19760
	v_add_co_u32_e32 v0, vcc, s4, v0
	v_addc_co_u32_e32 v1, vcc, v1, v20, vcc
	s_waitcnt vmcnt(0) lgkmcnt(1)
	v_mul_f64 v[18:19], v[10:11], v[6:7]
	v_mul_f64 v[6:7], v[8:9], v[6:7]
	v_fma_f64 v[8:9], v[8:9], v[4:5], v[18:19]
	v_fma_f64 v[6:7], v[4:5], v[10:11], -v[6:7]
	v_mul_f64 v[4:5], v[8:9], s[2:3]
	v_mul_f64 v[6:7], v[6:7], s[2:3]
	global_store_dwordx4 v[0:1], v[4:7], off
	global_load_dwordx4 v[4:7], v[16:17], off offset:3376
	v_add_co_u32_e32 v0, vcc, s4, v0
	v_addc_co_u32_e32 v1, vcc, v1, v20, vcc
	s_waitcnt vmcnt(0) lgkmcnt(0)
	v_mul_f64 v[8:9], v[14:15], v[6:7]
	v_mul_f64 v[6:7], v[12:13], v[6:7]
	v_fma_f64 v[8:9], v[12:13], v[4:5], v[8:9]
	v_fma_f64 v[6:7], v[4:5], v[14:15], -v[6:7]
	v_or_b32_e32 v12, 0x550, v254
	v_mul_f64 v[4:5], v[8:9], s[2:3]
	v_mul_f64 v[6:7], v[6:7], s[2:3]
	v_lshlrev_b32_e32 v8, 4, v12
	global_store_dwordx4 v[0:1], v[4:7], off
	global_load_dwordx4 v[4:7], v8, s[6:7]
	ds_read_b128 v[8:11], v223 offset:21760
	s_waitcnt vmcnt(0) lgkmcnt(0)
	v_mul_f64 v[0:1], v[10:11], v[6:7]
	v_mul_f64 v[6:7], v[8:9], v[6:7]
	v_fma_f64 v[0:1], v[8:9], v[4:5], v[0:1]
	v_fma_f64 v[6:7], v[4:5], v[10:11], -v[6:7]
	v_mad_u64_u32 v[8:9], s[0:1], s8, v12, 0
	v_mov_b32_e32 v4, v9
	v_mad_u64_u32 v[9:10], s[0:1], s9, v12, v[4:5]
	v_mul_f64 v[4:5], v[0:1], s[2:3]
	v_mul_f64 v[6:7], v[6:7], s[2:3]
	v_lshlrev_b64 v[0:1], 4, v[8:9]
	v_add_co_u32_e32 v0, vcc, v2, v0
	v_addc_co_u32_e32 v1, vcc, v3, v1, vcc
	global_store_dwordx4 v[0:1], v[4:7], off
.LBB0_15:
	s_endpgm
	.section	.rodata,"a",@progbits
	.p2align	6, 0x0
	.amdhsa_kernel bluestein_single_back_len1375_dim1_dp_op_CI_CI
		.amdhsa_group_segment_fixed_size 22000
		.amdhsa_private_segment_fixed_size 980
		.amdhsa_kernarg_size 104
		.amdhsa_user_sgpr_count 6
		.amdhsa_user_sgpr_private_segment_buffer 1
		.amdhsa_user_sgpr_dispatch_ptr 0
		.amdhsa_user_sgpr_queue_ptr 0
		.amdhsa_user_sgpr_kernarg_segment_ptr 1
		.amdhsa_user_sgpr_dispatch_id 0
		.amdhsa_user_sgpr_flat_scratch_init 0
		.amdhsa_user_sgpr_private_segment_size 0
		.amdhsa_uses_dynamic_stack 0
		.amdhsa_system_sgpr_private_segment_wavefront_offset 1
		.amdhsa_system_sgpr_workgroup_id_x 1
		.amdhsa_system_sgpr_workgroup_id_y 0
		.amdhsa_system_sgpr_workgroup_id_z 0
		.amdhsa_system_sgpr_workgroup_info 0
		.amdhsa_system_vgpr_workitem_id 0
		.amdhsa_next_free_vgpr 256
		.amdhsa_next_free_sgpr 44
		.amdhsa_reserve_vcc 1
		.amdhsa_reserve_flat_scratch 0
		.amdhsa_float_round_mode_32 0
		.amdhsa_float_round_mode_16_64 0
		.amdhsa_float_denorm_mode_32 3
		.amdhsa_float_denorm_mode_16_64 3
		.amdhsa_dx10_clamp 1
		.amdhsa_ieee_mode 1
		.amdhsa_fp16_overflow 0
		.amdhsa_exception_fp_ieee_invalid_op 0
		.amdhsa_exception_fp_denorm_src 0
		.amdhsa_exception_fp_ieee_div_zero 0
		.amdhsa_exception_fp_ieee_overflow 0
		.amdhsa_exception_fp_ieee_underflow 0
		.amdhsa_exception_fp_ieee_inexact 0
		.amdhsa_exception_int_div_zero 0
	.end_amdhsa_kernel
	.text
.Lfunc_end0:
	.size	bluestein_single_back_len1375_dim1_dp_op_CI_CI, .Lfunc_end0-bluestein_single_back_len1375_dim1_dp_op_CI_CI
                                        ; -- End function
	.section	.AMDGPU.csdata,"",@progbits
; Kernel info:
; codeLenInByte = 50124
; NumSgprs: 48
; NumVgprs: 256
; ScratchSize: 980
; MemoryBound: 0
; FloatMode: 240
; IeeeMode: 1
; LDSByteSize: 22000 bytes/workgroup (compile time only)
; SGPRBlocks: 5
; VGPRBlocks: 63
; NumSGPRsForWavesPerEU: 48
; NumVGPRsForWavesPerEU: 256
; Occupancy: 1
; WaveLimiterHint : 1
; COMPUTE_PGM_RSRC2:SCRATCH_EN: 1
; COMPUTE_PGM_RSRC2:USER_SGPR: 6
; COMPUTE_PGM_RSRC2:TRAP_HANDLER: 0
; COMPUTE_PGM_RSRC2:TGID_X_EN: 1
; COMPUTE_PGM_RSRC2:TGID_Y_EN: 0
; COMPUTE_PGM_RSRC2:TGID_Z_EN: 0
; COMPUTE_PGM_RSRC2:TIDIG_COMP_CNT: 0
	.type	__hip_cuid_35fb8098890642f4,@object ; @__hip_cuid_35fb8098890642f4
	.section	.bss,"aw",@nobits
	.globl	__hip_cuid_35fb8098890642f4
__hip_cuid_35fb8098890642f4:
	.byte	0                               ; 0x0
	.size	__hip_cuid_35fb8098890642f4, 1

	.ident	"AMD clang version 19.0.0git (https://github.com/RadeonOpenCompute/llvm-project roc-6.4.0 25133 c7fe45cf4b819c5991fe208aaa96edf142730f1d)"
	.section	".note.GNU-stack","",@progbits
	.addrsig
	.addrsig_sym __hip_cuid_35fb8098890642f4
	.amdgpu_metadata
---
amdhsa.kernels:
  - .args:
      - .actual_access:  read_only
        .address_space:  global
        .offset:         0
        .size:           8
        .value_kind:     global_buffer
      - .actual_access:  read_only
        .address_space:  global
        .offset:         8
        .size:           8
        .value_kind:     global_buffer
      - .actual_access:  read_only
        .address_space:  global
        .offset:         16
        .size:           8
        .value_kind:     global_buffer
      - .actual_access:  read_only
        .address_space:  global
        .offset:         24
        .size:           8
        .value_kind:     global_buffer
      - .actual_access:  read_only
        .address_space:  global
        .offset:         32
        .size:           8
        .value_kind:     global_buffer
      - .offset:         40
        .size:           8
        .value_kind:     by_value
      - .address_space:  global
        .offset:         48
        .size:           8
        .value_kind:     global_buffer
      - .address_space:  global
        .offset:         56
        .size:           8
        .value_kind:     global_buffer
      - .address_space:  global
        .offset:         64
        .size:           8
        .value_kind:     global_buffer
      - .address_space:  global
        .offset:         72
        .size:           8
        .value_kind:     global_buffer
      - .offset:         80
        .size:           4
        .value_kind:     by_value
      - .address_space:  global
        .offset:         88
        .size:           8
        .value_kind:     global_buffer
      - .address_space:  global
        .offset:         96
        .size:           8
        .value_kind:     global_buffer
    .group_segment_fixed_size: 22000
    .kernarg_segment_align: 8
    .kernarg_segment_size: 104
    .language:       OpenCL C
    .language_version:
      - 2
      - 0
    .max_flat_workgroup_size: 55
    .name:           bluestein_single_back_len1375_dim1_dp_op_CI_CI
    .private_segment_fixed_size: 980
    .sgpr_count:     48
    .sgpr_spill_count: 0
    .symbol:         bluestein_single_back_len1375_dim1_dp_op_CI_CI.kd
    .uniform_work_group_size: 1
    .uses_dynamic_stack: false
    .vgpr_count:     256
    .vgpr_spill_count: 276
    .wavefront_size: 64
amdhsa.target:   amdgcn-amd-amdhsa--gfx906
amdhsa.version:
  - 1
  - 2
...

	.end_amdgpu_metadata
